;; amdgpu-corpus repo=ROCm/rocFFT kind=compiled arch=gfx1030 opt=O3
	.text
	.amdgcn_target "amdgcn-amd-amdhsa--gfx1030"
	.amdhsa_code_object_version 6
	.protected	fft_rtc_fwd_len80_factors_2_2_4_5_wgs_125_tpt_5_dim3_sp_ip_CI_sbcc_twdbase8_2step_dirReg ; -- Begin function fft_rtc_fwd_len80_factors_2_2_4_5_wgs_125_tpt_5_dim3_sp_ip_CI_sbcc_twdbase8_2step_dirReg
	.globl	fft_rtc_fwd_len80_factors_2_2_4_5_wgs_125_tpt_5_dim3_sp_ip_CI_sbcc_twdbase8_2step_dirReg
	.p2align	8
	.type	fft_rtc_fwd_len80_factors_2_2_4_5_wgs_125_tpt_5_dim3_sp_ip_CI_sbcc_twdbase8_2step_dirReg,@function
fft_rtc_fwd_len80_factors_2_2_4_5_wgs_125_tpt_5_dim3_sp_ip_CI_sbcc_twdbase8_2step_dirReg: ; @fft_rtc_fwd_len80_factors_2_2_4_5_wgs_125_tpt_5_dim3_sp_ip_CI_sbcc_twdbase8_2step_dirReg
; %bb.0:
	s_load_dwordx4 s[0:3], s[4:5], 0x10
	s_waitcnt lgkmcnt(0)
	s_load_dwordx2 s[10:11], s[0:1], 0x8
	s_waitcnt lgkmcnt(0)
	s_add_u32 s7, s10, -1
	s_addc_u32 s8, s11, -1
	s_add_u32 s9, 0, 0xd7093700
	s_addc_u32 s12, 0, 51
	s_mul_hi_u32 s14, s9, 0xffffffe7
	s_add_i32 s12, s12, 0xa3d7070
	s_sub_i32 s14, s14, s9
	s_mul_i32 s16, s12, 0xffffffe7
	s_mul_i32 s13, s9, 0xffffffe7
	s_add_i32 s14, s14, s16
	s_mul_hi_u32 s15, s9, s13
	s_mul_i32 s18, s9, s14
	s_mul_hi_u32 s16, s9, s14
	s_mul_hi_u32 s17, s12, s13
	s_mul_i32 s13, s12, s13
	s_add_u32 s15, s15, s18
	s_addc_u32 s16, 0, s16
	s_mul_hi_u32 s19, s12, s14
	s_add_u32 s13, s15, s13
	s_mul_i32 s14, s12, s14
	s_addc_u32 s13, s16, s17
	s_addc_u32 s15, s19, 0
	s_add_u32 s13, s13, s14
	v_add_co_u32 v1, s9, s9, s13
	s_addc_u32 s13, 0, s15
	s_cmp_lg_u32 s9, 0
	s_addc_u32 s9, s12, s13
	v_readfirstlane_b32 s12, v1
	s_mul_i32 s14, s7, s9
	s_mul_hi_u32 s13, s7, s9
	s_mul_hi_u32 s15, s8, s9
	s_mul_i32 s9, s8, s9
	s_mul_hi_u32 s16, s7, s12
	s_mul_hi_u32 s17, s8, s12
	s_mul_i32 s12, s8, s12
	s_add_u32 s14, s16, s14
	s_addc_u32 s13, 0, s13
	s_add_u32 s12, s14, s12
	s_addc_u32 s12, s13, s17
	s_addc_u32 s13, s15, 0
	s_add_u32 s9, s12, s9
	s_addc_u32 s12, 0, s13
	s_mul_i32 s14, s9, 25
	s_add_u32 s13, s9, 1
	v_sub_co_u32 v1, s7, s7, s14
	s_mul_hi_u32 s14, s9, 25
	s_addc_u32 s15, s12, 0
	s_mul_i32 s16, s12, 25
	v_sub_co_u32 v2, s17, v1, 25
	s_add_u32 s18, s9, 2
	s_addc_u32 s19, s12, 0
	s_add_i32 s14, s14, s16
	s_cmp_lg_u32 s7, 0
	v_readfirstlane_b32 s7, v2
	s_subb_u32 s8, s8, s14
	s_cmp_lg_u32 s17, 0
	s_subb_u32 s14, s8, 0
	s_cmp_gt_u32 s7, 24
	s_cselect_b32 s7, -1, 0
	s_cmp_eq_u32 s14, 0
	v_readfirstlane_b32 s14, v1
	s_cselect_b32 s7, s7, -1
	s_cmp_lg_u32 s7, 0
	s_cselect_b32 s13, s18, s13
	s_cselect_b32 s15, s19, s15
	s_cmp_gt_u32 s14, 24
	s_mov_b64 s[18:19], 0
	s_cselect_b32 s7, -1, 0
	s_cmp_eq_u32 s8, 0
	s_cselect_b32 s7, s7, -1
	s_cmp_lg_u32 s7, 0
	s_mov_b32 s7, 0
	s_cselect_b32 s8, s13, s9
	s_cselect_b32 s9, s15, s12
	s_add_u32 s16, s8, 1
	s_addc_u32 s17, s9, 0
	v_cmp_lt_u64_e64 s8, s[6:7], s[16:17]
	s_and_b32 vcc_lo, exec_lo, s8
	s_cbranch_vccnz .LBB0_2
; %bb.1:
	v_cvt_f32_u32_e32 v1, s16
	s_sub_i32 s9, 0, s16
	s_mov_b32 s19, s7
	v_rcp_iflag_f32_e32 v1, v1
	v_mul_f32_e32 v1, 0x4f7ffffe, v1
	v_cvt_u32_f32_e32 v1, v1
	v_readfirstlane_b32 s8, v1
	s_mul_i32 s9, s9, s8
	s_mul_hi_u32 s9, s8, s9
	s_add_i32 s8, s8, s9
	s_mul_hi_u32 s8, s6, s8
	s_mul_i32 s9, s8, s16
	s_add_i32 s12, s8, 1
	s_sub_i32 s9, s6, s9
	s_sub_i32 s13, s9, s16
	s_cmp_ge_u32 s9, s16
	s_cselect_b32 s8, s12, s8
	s_cselect_b32 s9, s13, s9
	s_add_i32 s12, s8, 1
	s_cmp_ge_u32 s9, s16
	s_cselect_b32 s18, s12, s8
.LBB0_2:
	s_load_dwordx2 s[22:23], s[0:1], 0x10
	s_load_dwordx2 s[12:13], s[2:3], 0x8
	s_waitcnt lgkmcnt(0)
	v_cmp_lt_u64_e64 s0, s[18:19], s[22:23]
	s_and_b32 vcc_lo, exec_lo, s0
	s_mov_b64 s[0:1], s[18:19]
	s_cbranch_vccnz .LBB0_4
; %bb.3:
	v_cvt_f32_u32_e32 v1, s22
	s_sub_i32 s1, 0, s22
	v_rcp_iflag_f32_e32 v1, v1
	v_mul_f32_e32 v1, 0x4f7ffffe, v1
	v_cvt_u32_f32_e32 v1, v1
	v_readfirstlane_b32 s0, v1
	s_mul_i32 s1, s1, s0
	s_mul_hi_u32 s1, s0, s1
	s_add_i32 s0, s0, s1
	s_mul_hi_u32 s0, s18, s0
	s_mul_i32 s0, s0, s22
	s_sub_i32 s0, s18, s0
	s_sub_i32 s1, s0, s22
	s_cmp_ge_u32 s0, s22
	s_cselect_b32 s0, s1, s0
	s_sub_i32 s1, s0, s22
	s_cmp_ge_u32 s0, s22
	s_cselect_b32 s0, s1, s0
.LBB0_4:
	s_load_dwordx2 s[14:15], s[4:5], 0x50
	s_clause 0x1
	s_load_dwordx2 s[8:9], s[2:3], 0x0
	s_load_dwordx2 s[20:21], s[2:3], 0x10
	s_mul_i32 s1, s22, s17
	s_mul_hi_u32 s19, s22, s16
	s_mul_i32 s24, s22, s16
	s_add_i32 s1, s19, s1
	s_mul_i32 s19, s23, s16
	s_mov_b64 s[22:23], 0
	s_add_i32 s25, s1, s19
	v_cmp_lt_u64_e64 s1, s[6:7], s[24:25]
	s_and_b32 vcc_lo, exec_lo, s1
	s_cbranch_vccnz .LBB0_6
; %bb.5:
	v_cvt_f32_u32_e32 v1, s24
	s_sub_i32 s7, 0, s24
	v_rcp_iflag_f32_e32 v1, v1
	v_mul_f32_e32 v1, 0x4f7ffffe, v1
	v_cvt_u32_f32_e32 v1, v1
	v_readfirstlane_b32 s1, v1
	s_mul_i32 s7, s7, s1
	s_mul_hi_u32 s7, s1, s7
	s_add_i32 s1, s1, s7
	s_mul_hi_u32 s1, s6, s1
	s_mul_i32 s7, s1, s24
	s_add_i32 s19, s1, 1
	s_sub_i32 s7, s6, s7
	s_sub_i32 s22, s7, s24
	s_cmp_ge_u32 s7, s24
	s_cselect_b32 s1, s19, s1
	s_cselect_b32 s7, s22, s7
	s_add_i32 s19, s1, 1
	s_cmp_ge_u32 s7, s24
	s_cselect_b32 s22, s19, s1
.LBB0_6:
	s_load_dwordx2 s[2:3], s[2:3], 0x18
	s_mul_i32 s1, s18, s17
	s_mul_hi_u32 s7, s18, s16
	v_mul_u32_u24_e32 v1, 0xa3e, v0
	s_mul_i32 s16, s18, s16
	s_add_i32 s7, s7, s1
	s_sub_u32 s1, s6, s16
	s_subb_u32 s6, 0, s7
	v_lshrrev_b32_e32 v75, 16, v1
	s_mul_i32 s6, s6, 25
	s_mul_hi_u32 s7, s1, 25
	s_mul_i32 s17, s1, 25
	s_add_i32 s16, s7, s6
	s_mul_hi_u32 s6, s12, s17
	s_mul_i32 s1, s12, s16
	v_mul_lo_u16 v1, v75, 25
	s_add_i32 s1, s6, s1
	s_mul_i32 s18, s13, s17
	s_load_dwordx2 s[6:7], s[4:5], 0x0
	s_add_i32 s1, s1, s18
	s_waitcnt lgkmcnt(0)
	s_mul_i32 s18, s21, s0
	s_mul_hi_u32 s19, s20, s0
	s_mul_i32 s21, s12, s17
	s_mul_i32 s0, s20, s0
	v_sub_nc_u16 v1, v0, v1
	s_add_i32 s19, s19, s18
	s_mul_i32 s3, s3, s22
	s_mul_hi_u32 s18, s2, s22
	s_add_u32 s0, s0, s21
	s_mul_i32 s2, s2, s22
	s_addc_u32 s1, s19, s1
	s_add_i32 s18, s18, s3
	s_add_u32 s2, s2, s0
	s_addc_u32 s3, s18, s1
	v_and_b32_e32 v76, 0xffff, v1
	s_add_u32 s0, s17, 25
	s_addc_u32 s1, s16, 0
	v_add_nc_u32_e32 v33, 5, v75
	v_cmp_gt_u64_e64 s18, s[0:1], s[10:11]
	v_add_co_u32 v57, s17, s17, v76
	v_cmp_le_u64_e64 s1, s[0:1], s[10:11]
	v_add_co_ci_u32_e64 v58, null, s16, 0, s17
	v_add_nc_u32_e32 v34, 10, v75
	v_add_nc_u32_e32 v35, 15, v75
	;; [unrolled: 1-line block ×6, first 2 shown]
	s_and_b32 vcc_lo, exec_lo, s18
	s_mov_b32 s0, 0
	s_cbranch_vccnz .LBB0_8
; %bb.7:
	v_mad_u64_u32 v[1:2], null, s12, v76, 0
	v_mad_u64_u32 v[3:4], null, s8, v75, 0
	v_or_b32_e32 v12, 40, v75
	v_add_nc_u32_e32 v78, 5, v75
	v_add_nc_u32_e32 v14, 45, v75
	s_lshl_b64 s[16:17], s[2:3], 3
	v_add_nc_u32_e32 v77, 10, v75
	s_add_u32 s16, s14, s16
	v_mad_u64_u32 v[5:6], null, s13, v76, v[2:3]
	v_mad_u64_u32 v[6:7], null, s8, v12, 0
	;; [unrolled: 1-line block ×4, first 2 shown]
	v_mov_b32_e32 v2, v5
	v_mad_u64_u32 v[4:5], null, s9, v75, v[4:5]
	v_mov_b32_e32 v5, v7
	s_addc_u32 s17, s15, s17
	v_lshlrev_b64 v[1:2], 3, v[1:2]
	v_add_nc_u32_e32 v79, 15, v75
	v_add_nc_u32_e32 v24, 55, v75
	v_mad_u64_u32 v[12:13], null, s9, v12, v[5:6]
	v_mov_b32_e32 v5, v9
	v_add_co_u32 v49, vcc_lo, s16, v1
	v_add_co_ci_u32_e32 v50, vcc_lo, s17, v2, vcc_lo
	v_lshlrev_b64 v[1:2], 3, v[3:4]
	v_mov_b32_e32 v7, v12
	v_mad_u64_u32 v[3:4], null, s9, v78, v[5:6]
	v_mov_b32_e32 v4, v11
	v_mad_u64_u32 v[12:13], null, s8, v77, 0
	v_lshlrev_b64 v[5:6], 3, v[6:7]
	v_add_co_u32 v1, vcc_lo, v49, v1
	v_mov_b32_e32 v9, v3
	v_add_co_ci_u32_e32 v2, vcc_lo, v50, v2, vcc_lo
	v_mad_u64_u32 v[14:15], null, s9, v14, v[4:5]
	v_add_co_u32 v15, vcc_lo, v49, v5
	v_lshlrev_b64 v[4:5], 3, v[8:9]
	v_mov_b32_e32 v3, v13
	v_add_co_ci_u32_e32 v16, vcc_lo, v50, v6, vcc_lo
	v_mov_b32_e32 v11, v14
	v_add_nc_u32_e32 v14, 50, v75
	v_mad_u64_u32 v[6:7], null, s9, v77, v[3:4]
	v_mad_u64_u32 v[17:18], null, s8, v79, 0
	v_lshlrev_b64 v[7:8], 3, v[10:11]
	v_mad_u64_u32 v[9:10], null, s8, v14, 0
	v_add_co_u32 v3, vcc_lo, v49, v4
	v_mov_b32_e32 v13, v6
	v_mov_b32_e32 v6, v18
	v_add_co_ci_u32_e32 v4, vcc_lo, v50, v5, vcc_lo
	v_mov_b32_e32 v5, v10
	v_lshlrev_b64 v[11:12], 3, v[12:13]
	v_mad_u64_u32 v[21:22], null, s9, v79, v[6:7]
	v_mad_u64_u32 v[22:23], null, s8, v24, 0
	;; [unrolled: 1-line block ×3, first 2 shown]
	v_add_co_u32 v19, vcc_lo, v49, v7
	v_mov_b32_e32 v18, v21
	v_add_nc_u32_e32 v40, 20, v75
	v_add_co_ci_u32_e32 v20, vcc_lo, v50, v8, vcc_lo
	v_mov_b32_e32 v10, v13
	v_mov_b32_e32 v13, v23
	s_clause 0x3
	global_load_dwordx2 v[5:6], v[1:2], off
	global_load_dwordx2 v[7:8], v[15:16], off
	;; [unrolled: 1-line block ×4, first 2 shown]
	v_add_co_u32 v11, vcc_lo, v49, v11
	v_lshlrev_b64 v[9:10], 3, v[9:10]
	v_mad_u64_u32 v[13:14], null, s9, v24, v[13:14]
	v_lshlrev_b64 v[14:15], 3, v[17:18]
	v_mad_u64_u32 v[17:18], null, s8, v40, 0
	v_add_co_ci_u32_e32 v12, vcc_lo, v50, v12, vcc_lo
	v_add_co_u32 v9, vcc_lo, v49, v9
	v_mov_b32_e32 v23, v13
	v_add_nc_u32_e32 v16, 60, v75
	v_add_co_ci_u32_e32 v10, vcc_lo, v50, v10, vcc_lo
	v_add_co_u32 v19, vcc_lo, v49, v14
	v_add_co_ci_u32_e32 v20, vcc_lo, v50, v15, vcc_lo
	v_lshlrev_b64 v[14:15], 3, v[22:23]
	v_mov_b32_e32 v13, v18
	v_mad_u64_u32 v[21:22], null, s8, v16, 0
	v_add_nc_u32_e32 v41, 25, v75
	v_add_nc_u32_e32 v42, 30, v75
	v_mad_u64_u32 v[23:24], null, s9, v40, v[13:14]
	v_add_co_u32 v24, vcc_lo, v49, v14
	v_mad_u64_u32 v[26:27], null, s8, v41, 0
	v_mov_b32_e32 v13, v22
	v_add_co_ci_u32_e32 v25, vcc_lo, v50, v15, vcc_lo
	v_mov_b32_e32 v18, v23
	v_mad_u64_u32 v[28:29], null, s8, v42, 0
	v_mad_u64_u32 v[22:23], null, s9, v16, v[13:14]
	s_clause 0x3
	global_load_dwordx2 v[13:14], v[11:12], off
	global_load_dwordx2 v[15:16], v[9:10], off
	;; [unrolled: 1-line block ×4, first 2 shown]
	v_mov_b32_e32 v19, v27
	v_add_nc_u32_e32 v25, 0x41, v75
	v_lshlrev_b64 v[17:18], 3, v[17:18]
	v_add_nc_u32_e32 v32, 0x46, v75
	v_add_nc_u32_e32 v43, 35, v75
	v_mad_u64_u32 v[19:20], null, s9, v41, v[19:20]
	v_mad_u64_u32 v[23:24], null, s8, v25, 0
	v_lshlrev_b64 v[20:21], 3, v[21:22]
	v_add_co_u32 v17, vcc_lo, v49, v17
	v_add_co_ci_u32_e32 v18, vcc_lo, v50, v18, vcc_lo
	v_mov_b32_e32 v27, v19
	v_mov_b32_e32 v19, v24
	v_mad_u64_u32 v[30:31], null, s8, v32, 0
	v_mad_u64_u32 v[44:45], null, s8, v43, 0
	;; [unrolled: 1-line block ×3, first 2 shown]
	v_add_co_u32 v19, vcc_lo, v49, v20
	v_add_co_ci_u32_e32 v20, vcc_lo, v50, v21, vcc_lo
	v_mov_b32_e32 v21, v29
	v_add_nc_u32_e32 v48, 0x4b, v75
	v_lshlrev_b64 v[25:26], 3, v[26:27]
	v_mad_u64_u32 v[21:22], null, s9, v42, v[21:22]
	v_mov_b32_e32 v22, v31
	v_mad_u64_u32 v[46:47], null, s8, v48, 0
	v_add_co_u32 v25, vcc_lo, v49, v25
	v_mad_u64_u32 v[31:32], null, s9, v32, v[22:23]
	v_lshlrev_b64 v[23:24], 3, v[23:24]
	v_mov_b32_e32 v22, v45
	v_mov_b32_e32 v29, v21
	v_add_co_ci_u32_e32 v26, vcc_lo, v50, v26, vcc_lo
	v_mad_u64_u32 v[21:22], null, s9, v43, v[22:23]
	v_mov_b32_e32 v22, v47
	v_add_co_u32 v23, vcc_lo, v49, v23
	v_lshlrev_b64 v[27:28], 3, v[28:29]
	v_lshlrev_b64 v[29:30], 3, v[30:31]
	v_add_co_ci_u32_e32 v24, vcc_lo, v50, v24, vcc_lo
	v_mad_u64_u32 v[47:48], null, s9, v48, v[22:23]
	v_mov_b32_e32 v45, v21
	v_add_co_u32 v27, vcc_lo, v49, v27
	v_add_co_ci_u32_e32 v28, vcc_lo, v50, v28, vcc_lo
	v_lshlrev_b64 v[21:22], 3, v[44:45]
	v_add_co_u32 v44, vcc_lo, v49, v29
	v_add_co_ci_u32_e32 v45, vcc_lo, v50, v30, vcc_lo
	v_lshlrev_b64 v[29:30], 3, v[46:47]
	v_add_co_u32 v46, vcc_lo, v49, v21
	v_add_co_ci_u32_e32 v47, vcc_lo, v50, v22, vcc_lo
	v_add_co_u32 v48, vcc_lo, v49, v29
	v_add_co_ci_u32_e32 v49, vcc_lo, v50, v30, vcc_lo
	s_clause 0x7
	global_load_dwordx2 v[29:30], v[17:18], off
	global_load_dwordx2 v[31:32], v[19:20], off
	;; [unrolled: 1-line block ×8, first 2 shown]
	s_andn2_b32 vcc_lo, exec_lo, s0
	s_cbranch_vccz .LBB0_9
	s_branch .LBB0_14
.LBB0_8:
                                        ; implicit-def: $vgpr1
                                        ; implicit-def: $vgpr9
                                        ; implicit-def: $vgpr21
                                        ; implicit-def: $vgpr19
                                        ; implicit-def: $vgpr17
                                        ; implicit-def: $vgpr27
                                        ; implicit-def: $vgpr23
                                        ; implicit-def: $vgpr25
                                        ; implicit-def: $vgpr31
                                        ; implicit-def: $vgpr29
                                        ; implicit-def: $vgpr11
                                        ; implicit-def: $vgpr15
                                        ; implicit-def: $vgpr13
                                        ; implicit-def: $vgpr3
                                        ; implicit-def: $vgpr7
                                        ; implicit-def: $vgpr5
                                        ; implicit-def: $vgpr78
                                        ; implicit-def: $vgpr77
                                        ; implicit-def: $vgpr79
                                        ; implicit-def: $vgpr40
                                        ; implicit-def: $vgpr41
                                        ; implicit-def: $vgpr42
                                        ; implicit-def: $vgpr43
.LBB0_9:
	s_mov_b32 s0, exec_lo
                                        ; implicit-def: $vgpr78
                                        ; implicit-def: $vgpr77
                                        ; implicit-def: $vgpr79
                                        ; implicit-def: $vgpr40
                                        ; implicit-def: $vgpr41
                                        ; implicit-def: $vgpr42
                                        ; implicit-def: $vgpr43
	v_cmpx_le_u64_e64 s[10:11], v[57:58]
	s_xor_b32 s0, exec_lo, s0
; %bb.10:
	v_add_nc_u32_e32 v78, 5, v75
	v_add_nc_u32_e32 v77, 10, v75
	;; [unrolled: 1-line block ×7, first 2 shown]
                                        ; implicit-def: $vgpr33
                                        ; implicit-def: $vgpr34
                                        ; implicit-def: $vgpr35
                                        ; implicit-def: $vgpr36
                                        ; implicit-def: $vgpr37
                                        ; implicit-def: $vgpr38
                                        ; implicit-def: $vgpr39
; %bb.11:
	s_or_saveexec_b32 s0, s0
                                        ; implicit-def: $vgpr1
                                        ; implicit-def: $vgpr9
                                        ; implicit-def: $vgpr21
                                        ; implicit-def: $vgpr19
                                        ; implicit-def: $vgpr17
                                        ; implicit-def: $vgpr27
                                        ; implicit-def: $vgpr23
                                        ; implicit-def: $vgpr25
                                        ; implicit-def: $vgpr31
                                        ; implicit-def: $vgpr29
                                        ; implicit-def: $vgpr11
                                        ; implicit-def: $vgpr15
                                        ; implicit-def: $vgpr13
                                        ; implicit-def: $vgpr3
                                        ; implicit-def: $vgpr7
                                        ; implicit-def: $vgpr5
	s_xor_b32 exec_lo, exec_lo, s0
	s_cbranch_execz .LBB0_13
; %bb.12:
	s_waitcnt vmcnt(12)
	v_mad_u64_u32 v[1:2], null, s12, v76, 0
	v_mad_u64_u32 v[3:4], null, s8, v75, 0
	s_waitcnt vmcnt(11)
	v_or_b32_e32 v13, 40, v75
	v_mad_u64_u32 v[5:6], null, s8, v33, 0
	v_add_nc_u32_e32 v14, 45, v75
	s_lshl_b64 s[16:17], s[2:3], 3
	s_waitcnt vmcnt(1)
	v_add_nc_u32_e32 v18, 50, v75
	v_mad_u64_u32 v[7:8], null, s13, v76, v[2:3]
	v_mad_u64_u32 v[8:9], null, s8, v13, 0
	;; [unrolled: 1-line block ×3, first 2 shown]
	v_mov_b32_e32 v4, v6
	s_add_u32 s16, s14, s16
	v_mov_b32_e32 v2, v7
	s_addc_u32 s17, s15, s17
	v_mov_b32_e32 v6, v9
	v_mad_u64_u32 v[11:12], null, s9, v33, v[4:5]
	v_mov_b32_e32 v4, v10
	v_lshlrev_b64 v[1:2], 3, v[1:2]
	v_mad_u64_u32 v[6:7], null, s9, v13, v[6:7]
	v_mad_u64_u32 v[12:13], null, s8, v14, 0
	v_lshlrev_b64 v[3:4], 3, v[3:4]
	v_add_co_u32 v47, vcc_lo, s16, v1
	v_add_co_ci_u32_e32 v48, vcc_lo, s17, v2, vcc_lo
	v_mov_b32_e32 v9, v6
	v_mov_b32_e32 v6, v11
	v_add_co_u32 v1, vcc_lo, v47, v3
	v_add_co_ci_u32_e32 v2, vcc_lo, v48, v4, vcc_lo
	v_lshlrev_b64 v[4:5], 3, v[5:6]
	v_mov_b32_e32 v3, v13
	v_lshlrev_b64 v[7:8], 3, v[8:9]
	v_add_nc_u32_e32 v22, 55, v75
	v_add_nc_u32_e32 v28, 60, v75
	;; [unrolled: 1-line block ×3, first 2 shown]
	v_mad_u64_u32 v[9:10], null, s9, v14, v[3:4]
	v_mad_u64_u32 v[10:11], null, s8, v34, 0
	;; [unrolled: 1-line block ×3, first 2 shown]
	v_add_co_u32 v7, vcc_lo, v47, v7
	v_mov_b32_e32 v13, v9
	v_add_co_ci_u32_e32 v8, vcc_lo, v48, v8, vcc_lo
	v_add_co_u32 v16, vcc_lo, v47, v4
	v_mov_b32_e32 v3, v11
	v_add_co_ci_u32_e32 v17, vcc_lo, v48, v5, vcc_lo
	v_mov_b32_e32 v4, v15
	v_lshlrev_b64 v[5:6], 3, v[12:13]
	s_waitcnt vmcnt(0)
	v_mad_u64_u32 v[20:21], null, s8, v22, 0
	v_add_nc_u32_e32 v45, 0x4b, v75
	v_mad_u64_u32 v[11:12], null, s9, v34, v[3:4]
	v_mad_u64_u32 v[3:4], null, s9, v18, v[4:5]
	v_mad_u64_u32 v[18:19], null, s8, v35, 0
	v_add_co_u32 v12, vcc_lo, v47, v5
	v_lshlrev_b64 v[10:11], 3, v[10:11]
	v_add_co_ci_u32_e32 v13, vcc_lo, v48, v6, vcc_lo
	v_mov_b32_e32 v15, v3
	v_mov_b32_e32 v9, v19
	s_clause 0x3
	global_load_dwordx2 v[5:6], v[1:2], off
	global_load_dwordx2 v[7:8], v[7:8], off
	;; [unrolled: 1-line block ×4, first 2 shown]
	v_mov_b32_e32 v12, v21
	v_mov_b32_e32 v78, v33
	v_lshlrev_b64 v[13:14], 3, v[14:15]
	v_mad_u64_u32 v[15:16], null, s9, v35, v[9:10]
	v_add_co_u32 v9, vcc_lo, v47, v10
	v_add_co_ci_u32_e32 v10, vcc_lo, v48, v11, vcc_lo
	v_mad_u64_u32 v[16:17], null, s9, v22, v[12:13]
	v_mad_u64_u32 v[22:23], null, s8, v36, 0
	v_mov_b32_e32 v19, v15
	v_add_co_u32 v11, vcc_lo, v47, v13
	v_add_co_ci_u32_e32 v12, vcc_lo, v48, v14, vcc_lo
	v_lshlrev_b64 v[14:15], 3, v[18:19]
	v_mov_b32_e32 v13, v23
	v_mov_b32_e32 v21, v16
	v_mov_b32_e32 v77, v34
	v_mov_b32_e32 v79, v35
	v_mad_u64_u32 v[18:19], null, s9, v36, v[13:14]
	v_lshlrev_b64 v[16:17], 3, v[20:21]
	v_mad_u64_u32 v[19:20], null, s8, v28, 0
	v_add_co_u32 v24, vcc_lo, v47, v14
	v_add_co_ci_u32_e32 v25, vcc_lo, v48, v15, vcc_lo
	v_add_co_u32 v26, vcc_lo, v47, v16
	v_mov_b32_e32 v13, v20
	v_add_co_ci_u32_e32 v27, vcc_lo, v48, v17, vcc_lo
	v_mov_b32_e32 v23, v18
	v_mad_u64_u32 v[17:18], null, s8, v37, 0
	v_mad_u64_u32 v[20:21], null, s9, v28, v[13:14]
	v_add_nc_u32_e32 v28, 0x41, v75
	s_clause 0x3
	global_load_dwordx2 v[13:14], v[9:10], off
	global_load_dwordx2 v[15:16], v[11:12], off
	;; [unrolled: 1-line block ×4, first 2 shown]
	v_lshlrev_b64 v[21:22], 3, v[22:23]
	v_mad_u64_u32 v[25:26], null, s9, v37, v[18:19]
	v_mad_u64_u32 v[23:24], null, s8, v28, 0
	;; [unrolled: 1-line block ×3, first 2 shown]
	v_lshlrev_b64 v[19:20], 3, v[19:20]
	v_add_co_u32 v21, vcc_lo, v47, v21
	v_mov_b32_e32 v18, v25
	v_mad_u64_u32 v[24:25], null, s9, v28, v[24:25]
	v_mad_u64_u32 v[28:29], null, s8, v40, 0
	v_mov_b32_e32 v25, v27
	v_lshlrev_b64 v[17:18], 3, v[17:18]
	v_add_co_ci_u32_e32 v22, vcc_lo, v48, v22, vcc_lo
	v_add_co_u32 v19, vcc_lo, v47, v19
	v_mad_u64_u32 v[30:31], null, s9, v38, v[25:26]
	v_mov_b32_e32 v25, v29
	v_mad_u64_u32 v[31:32], null, s8, v39, 0
	v_lshlrev_b64 v[23:24], 3, v[23:24]
	v_add_co_ci_u32_e32 v20, vcc_lo, v48, v20, vcc_lo
	v_mad_u64_u32 v[40:41], null, s9, v40, v[25:26]
	v_mad_u64_u32 v[41:42], null, s8, v45, 0
	v_mov_b32_e32 v25, v32
	v_mov_b32_e32 v27, v30
	v_add_co_u32 v17, vcc_lo, v47, v17
	v_mov_b32_e32 v29, v40
	v_mad_u64_u32 v[43:44], null, s9, v39, v[25:26]
	v_lshlrev_b64 v[26:27], 3, v[26:27]
	v_mov_b32_e32 v25, v42
	v_add_co_ci_u32_e32 v18, vcc_lo, v48, v18, vcc_lo
	v_add_co_u32 v23, vcc_lo, v47, v23
	v_mad_u64_u32 v[44:45], null, s9, v45, v[25:26]
	v_lshlrev_b64 v[28:29], 3, v[28:29]
	v_mov_b32_e32 v32, v43
	v_add_co_ci_u32_e32 v24, vcc_lo, v48, v24, vcc_lo
	v_add_co_u32 v45, vcc_lo, v47, v26
	v_mov_b32_e32 v42, v44
	v_add_co_ci_u32_e32 v46, vcc_lo, v48, v27, vcc_lo
	v_lshlrev_b64 v[25:26], 3, v[31:32]
	v_add_co_u32 v27, vcc_lo, v47, v28
	v_add_co_ci_u32_e32 v28, vcc_lo, v48, v29, vcc_lo
	v_lshlrev_b64 v[29:30], 3, v[41:42]
	v_add_co_u32 v40, vcc_lo, v47, v25
	v_add_co_ci_u32_e32 v41, vcc_lo, v48, v26, vcc_lo
	v_add_co_u32 v42, vcc_lo, v47, v29
	v_add_co_ci_u32_e32 v43, vcc_lo, v48, v30, vcc_lo
	s_clause 0x7
	global_load_dwordx2 v[29:30], v[21:22], off
	global_load_dwordx2 v[31:32], v[19:20], off
	;; [unrolled: 1-line block ×8, first 2 shown]
	v_mov_b32_e32 v40, v36
	v_mov_b32_e32 v41, v37
	;; [unrolled: 1-line block ×4, first 2 shown]
.LBB0_13:
	s_or_b32 exec_lo, exec_lo, s0
.LBB0_14:
	s_waitcnt vmcnt(12)
	v_sub_f32_e32 v33, v3, v1
	v_sub_f32_e32 v34, v4, v2
	;; [unrolled: 1-line block ×4, first 2 shown]
	v_lshlrev_b32_e32 v1, 3, v76
	v_fma_f32 v2, v3, 2.0, -v33
	v_fma_f32 v3, v4, 2.0, -v34
	v_mul_u32_u24_e32 v4, 0x190, v75
	v_mul_i32_i24_e32 v35, 0x190, v78
	v_fma_f32 v5, v5, 2.0, -v7
	v_fma_f32 v6, v6, 2.0, -v8
	s_waitcnt vmcnt(10)
	v_sub_f32_e32 v15, v13, v15
	v_sub_f32_e32 v16, v14, v16
	v_mul_i32_i24_e32 v36, 0x190, v77
	v_add3_u32 v4, 0, v4, v1
	v_add3_u32 v35, 0, v35, v1
	s_waitcnt vmcnt(8)
	v_sub_f32_e32 v9, v11, v9
	v_sub_f32_e32 v10, v12, v10
	v_fma_f32 v13, v13, 2.0, -v15
	v_fma_f32 v14, v14, 2.0, -v16
	v_add3_u32 v36, 0, v36, v1
	ds_write2_b64 v4, v[5:6], v[7:8] offset1:25
	v_mul_i32_i24_e32 v4, 0x190, v79
	s_waitcnt vmcnt(6)
	v_sub_f32_e32 v31, v29, v31
	v_sub_f32_e32 v32, v30, v32
	ds_write2_b64 v35, v[2:3], v[33:34] offset1:25
	ds_write2_b64 v36, v[13:14], v[15:16] offset1:25
	v_mul_i32_i24_e32 v2, 0x190, v40
	v_fma_f32 v11, v11, 2.0, -v9
	v_fma_f32 v12, v12, 2.0, -v10
	s_waitcnt vmcnt(4)
	v_sub_f32_e32 v21, v25, v21
	v_sub_f32_e32 v22, v26, v22
	s_waitcnt vmcnt(2)
	v_sub_f32_e32 v27, v23, v27
	v_sub_f32_e32 v28, v24, v28
	v_mul_i32_i24_e32 v3, 0x190, v41
	v_add3_u32 v4, 0, v4, v1
	v_mul_i32_i24_e32 v5, 0x190, v42
	s_waitcnt vmcnt(0)
	v_sub_f32_e32 v19, v17, v19
	v_sub_f32_e32 v20, v18, v20
	v_mul_i32_i24_e32 v6, 0x190, v43
	v_fma_f32 v29, v29, 2.0, -v31
	v_fma_f32 v30, v30, 2.0, -v32
	v_add3_u32 v2, 0, v2, v1
	v_fma_f32 v25, v25, 2.0, -v21
	v_fma_f32 v26, v26, 2.0, -v22
	;; [unrolled: 1-line block ×4, first 2 shown]
	v_add3_u32 v3, 0, v3, v1
	ds_write2_b64 v4, v[11:12], v[9:10] offset1:25
	v_add3_u32 v4, 0, v5, v1
	v_fma_f32 v17, v17, 2.0, -v19
	v_fma_f32 v18, v18, 2.0, -v20
	v_add3_u32 v5, 0, v6, v1
	ds_write2_b64 v2, v[29:30], v[31:32] offset1:25
	ds_write2_b64 v3, v[25:26], v[21:22] offset1:25
	v_and_b32_e32 v2, 1, v78
	ds_write2_b64 v4, v[23:24], v[27:28] offset1:25
	ds_write2_b64 v5, v[17:18], v[19:20] offset1:25
	v_and_b32_e32 v4, 1, v79
	v_and_b32_e32 v5, 1, v41
	;; [unrolled: 1-line block ×3, first 2 shown]
	v_lshlrev_b32_e32 v6, 3, v2
	s_waitcnt lgkmcnt(0)
	v_lshlrev_b32_e32 v7, 3, v4
	v_lshlrev_b32_e32 v8, 3, v5
	;; [unrolled: 1-line block ×3, first 2 shown]
	s_barrier
	buffer_gl0_inv
	s_clause 0x3
	global_load_dwordx2 v[17:18], v6, s[6:7]
	global_load_dwordx2 v[19:20], v7, s[6:7]
	;; [unrolled: 1-line block ×4, first 2 shown]
	v_and_b32_e32 v6, 1, v43
	v_mul_i32_i24_e32 v8, 0xc8, v78
	v_mul_i32_i24_e32 v10, 0xc8, v79
	v_mul_i32_i24_e32 v12, 0xc8, v41
	v_lshlrev_b32_e32 v15, 1, v75
	v_lshlrev_b32_e32 v7, 3, v6
	;; [unrolled: 1-line block ×4, first 2 shown]
	v_mul_i32_i24_e32 v9, 0xc8, v77
	v_mul_i32_i24_e32 v11, 0xc8, v40
	global_load_dwordx2 v[29:30], v7, s[6:7]
	v_mul_u32_u24_e32 v7, 0xc8, v75
	v_mul_i32_i24_e32 v13, 0xc8, v42
	v_mul_i32_i24_e32 v14, 0xc8, v43
	v_lshlrev_b32_e32 v31, 1, v77
	v_lshlrev_b32_e32 v32, 1, v79
	v_add3_u32 v27, 0, v7, v1
	v_lshlrev_b32_e32 v33, 1, v40
	v_lshlrev_b32_e32 v35, 1, v42
	;; [unrolled: 1-line block ×3, first 2 shown]
	v_and_b32_e32 v56, 3, v78
	v_and_b32_e32 v59, 3, v77
	;; [unrolled: 1-line block ×3, first 2 shown]
	v_add3_u32 v28, 0, v8, v1
	v_add3_u32 v25, 0, v10, v1
	;; [unrolled: 1-line block ×3, first 2 shown]
	v_and_or_b32 v10, 0x3ffc, v16, v2
	v_and_or_b32 v12, 0x3ffc, v34, v5
	;; [unrolled: 1-line block ×3, first 2 shown]
	v_add_nc_u32_e32 v2, 0x1c00, v27
	v_add3_u32 v26, 0, v9, v1
	v_add3_u32 v61, 0, v11, v1
	;; [unrolled: 1-line block ×4, first 2 shown]
	v_and_or_b32 v11, 0x3ffc, v32, v4
	v_and_or_b32 v13, 0x3ffc, v31, v3
	;; [unrolled: 1-line block ×4, first 2 shown]
	v_add_nc_u32_e32 v3, 0x2400, v27
	v_and_or_b32 v16, 0x3ffc, v36, v6
	v_mul_u32_u24_e32 v49, 3, v56
	v_mul_u32_u24_e32 v50, 3, v59
	v_add_nc_u32_e32 v63, 0x3000, v27
	v_mul_u32_u24_e32 v51, 3, v37
	v_add_nc_u32_e32 v4, 0x2c00, v27
	ds_read_b64 v[31:32], v28
	ds_read_b64 v[33:34], v27 offset:15000
	ds_read_b64 v[35:36], v27
	ds_read_b64 v[37:38], v25
	;; [unrolled: 1-line block ×7, first 2 shown]
	v_mul_u32_u24_e32 v52, 0xc8, v5
	ds_read2_b64 v[5:8], v2 offset0:104 offset1:229
	v_mul_u32_u24_e32 v53, 0xc8, v10
	v_mul_u32_u24_e32 v55, 0xc8, v11
	;; [unrolled: 1-line block ×3, first 2 shown]
	ds_read2_b64 v[9:12], v3 offset0:98 offset1:223
	v_mul_u32_u24_e32 v54, 0xc8, v13
	v_mul_u32_u24_e32 v62, 0xc8, v14
	;; [unrolled: 1-line block ×4, first 2 shown]
	v_lshlrev_b32_e32 v67, 3, v49
	v_lshlrev_b32_e32 v68, 3, v50
	ds_read2_b64 v[13:16], v63 offset0:89 offset1:214
	ds_read2_b32 v[49:50], v4 offset0:184 offset1:185
	v_and_b32_e32 v60, 3, v79
	v_add3_u32 v52, 0, v52, v1
	v_add3_u32 v53, 0, v53, v1
	;; [unrolled: 1-line block ×5, first 2 shown]
	s_waitcnt vmcnt(0) lgkmcnt(0)
	s_barrier
	buffer_gl0_inv
	v_add3_u32 v64, 0, v64, v1
	v_add3_u32 v65, 0, v65, v1
	v_add3_u32 v66, 0, v66, v1
	v_cmp_gt_u32_e64 s0, 25, v0
	s_mov_b32 s16, 0
	v_mul_f32_e32 v69, v18, v8
	v_mul_f32_e32 v18, v18, v7
	;; [unrolled: 1-line block ×16, first 2 shown]
	v_fma_f32 v5, v23, v5, -v70
	v_fmac_f32_e32 v71, v23, v6
	v_fma_f32 v7, v17, v7, -v69
	v_fmac_f32_e32 v18, v17, v8
	;; [unrolled: 2-line block ×4, first 2 shown]
	v_fma_f32 v17, v13, v21, -v80
	v_fma_f32 v13, v23, v49, -v83
	v_fmac_f32_e32 v24, v50, v23
	v_fmac_f32_e32 v22, v14, v21
	v_fma_f32 v19, v15, v23, -v81
	v_fmac_f32_e32 v82, v16, v23
	v_fma_f32 v21, v33, v29, -v84
	v_fmac_f32_e32 v30, v34, v29
	v_sub_f32_e32 v5, v35, v5
	v_sub_f32_e32 v6, v36, v71
	;; [unrolled: 1-line block ×16, first 2 shown]
	v_fma_f32 v21, v35, 2.0, -v5
	v_fma_f32 v22, v36, 2.0, -v6
	;; [unrolled: 1-line block ×16, first 2 shown]
	ds_write2_b64 v52, v[21:22], v[5:6] offset1:50
	ds_write2_b64 v53, v[23:24], v[7:8] offset1:50
	;; [unrolled: 1-line block ×8, first 2 shown]
	v_mul_u32_u24_e32 v13, 3, v60
	v_lshlrev_b32_e32 v21, 3, v51
	s_waitcnt lgkmcnt(0)
	s_barrier
	buffer_gl0_inv
	v_lshlrev_b32_e32 v22, 3, v13
	s_clause 0x7
	global_load_dwordx4 v[5:8], v67, s[6:7] offset:16
	global_load_dwordx4 v[9:12], v68, s[6:7] offset:16
	;; [unrolled: 1-line block ×4, first 2 shown]
	global_load_dwordx2 v[34:35], v21, s[6:7] offset:32
	global_load_dwordx2 v[50:51], v67, s[6:7] offset:32
	;; [unrolled: 1-line block ×4, first 2 shown]
	v_lshlrev_b32_e32 v29, 2, v75
	v_lshlrev_b32_e32 v81, 2, v78
	;; [unrolled: 1-line block ×4, first 2 shown]
	v_add_nc_u32_e32 v30, 0x1000, v27
	v_or_b32_e32 v21, v29, v75
	v_and_or_b32 v22, 0x7ff0, v81, v56
	v_and_or_b32 v23, 0x7ff0, v80, v59
	;; [unrolled: 1-line block ×3, first 2 shown]
	v_add_nc_u32_e32 v31, 0x2000, v27
	v_and_b32_e32 v21, 19, v21
	v_mul_u32_u24_e32 v22, 0xc8, v22
	v_mul_u32_u24_e32 v23, 0xc8, v23
	;; [unrolled: 1-line block ×3, first 2 shown]
	v_add_nc_u32_e32 v36, 0x1800, v27
	v_mul_u32_u24_e32 v32, 0xc8, v21
	v_add3_u32 v72, 0, v22, v1
	v_add3_u32 v73, 0, v23, v1
	;; [unrolled: 1-line block ×3, first 2 shown]
	ds_read2_b64 v[21:24], v30 offset0:113 offset1:238
	v_add3_u32 v1, 0, v32, v1
	ds_read2_b64 v[30:33], v31 offset0:101 offset1:226
	v_add_nc_u32_e32 v42, 0x2800, v27
	ds_read_b64 v[59:60], v61
	ds_read2_b64 v[38:41], v36 offset0:107 offset1:232
	ds_read2_b64 v[42:45], v42 offset0:95 offset1:220
	ds_read_b64 v[61:62], v26
	ds_read2_b64 v[46:49], v63 offset0:89 offset1:214
	ds_read_b64 v[63:64], v28
	ds_read_b64 v[65:66], v27 offset:15000
	ds_read_b64 v[67:68], v27
	ds_read_b64 v[69:70], v25
	v_add_nc_u32_e32 v56, 0xc00, v27
	v_add_nc_u32_e32 v86, 0x400, v1
	v_add_nc_u32_e32 v71, 0x1400, v27
	v_add_nc_u32_e32 v83, 0x400, v72
	v_add_nc_u32_e32 v82, 0x3400, v27
	v_add_nc_u32_e32 v84, 0x400, v73
	v_add_nc_u32_e32 v85, 0x400, v74
	s_waitcnt vmcnt(0) lgkmcnt(0)
	s_barrier
	buffer_gl0_inv
	v_mul_f32_e32 v90, v14, v60
	v_mul_f32_e32 v14, v14, v59
	;; [unrolled: 1-line block ×24, first 2 shown]
	v_fma_f32 v21, v5, v21, -v36
	v_fmac_f32_e32 v87, v5, v22
	v_fma_f32 v5, v30, v7, -v6
	v_fmac_f32_e32 v8, v31, v7
	v_fma_f32 v22, v23, v9, -v88
	v_fmac_f32_e32 v10, v24, v9
	v_fma_f32 v7, v13, v59, -v90
	v_fmac_f32_e32 v14, v13, v60
	v_fma_f32 v9, v15, v40, -v91
	v_fmac_f32_e32 v16, v15, v41
	v_fma_f32 v13, v34, v44, -v93
	v_fmac_f32_e32 v35, v34, v45
	v_fma_f32 v6, v32, v11, -v89
	v_fmac_f32_e32 v12, v33, v11
	v_fma_f32 v11, v38, v17, -v92
	v_fmac_f32_e32 v18, v39, v17
	v_fma_f32 v17, v46, v50, -v95
	v_fmac_f32_e32 v51, v47, v50
	v_fma_f32 v15, v42, v19, -v94
	v_fmac_f32_e32 v20, v43, v19
	v_fma_f32 v19, v48, v52, -v96
	v_fmac_f32_e32 v53, v49, v52
	v_fma_f32 v23, v65, v54, -v97
	v_fmac_f32_e32 v55, v66, v54
	v_sub_f32_e32 v24, v67, v9
	v_sub_f32_e32 v16, v68, v16
	;; [unrolled: 1-line block ×16, first 2 shown]
	v_fma_f32 v36, v67, 2.0, -v24
	v_fma_f32 v38, v68, 2.0, -v16
	;; [unrolled: 1-line block ×4, first 2 shown]
	v_add_f32_e32 v6, v16, v9
	v_fma_f32 v39, v63, 2.0, -v30
	v_fma_f32 v40, v64, 2.0, -v31
	;; [unrolled: 1-line block ×8, first 2 shown]
	v_sub_f32_e32 v5, v24, v13
	v_fma_f32 v45, v69, 2.0, -v34
	v_fma_f32 v46, v70, 2.0, -v35
	;; [unrolled: 1-line block ×4, first 2 shown]
	v_sub_f32_e32 v9, v32, v19
	v_add_f32_e32 v10, v33, v12
	v_sub_f32_e32 v11, v36, v23
	v_sub_f32_e32 v12, v38, v14
	;; [unrolled: 1-line block ×3, first 2 shown]
	v_add_f32_e32 v8, v31, v8
	v_sub_f32_e32 v63, v34, v20
	v_add_f32_e32 v64, v35, v15
	v_fma_f32 v14, v16, 2.0, -v6
	v_sub_f32_e32 v15, v39, v21
	v_sub_f32_e32 v16, v40, v41
	;; [unrolled: 1-line block ×4, first 2 shown]
	v_fma_f32 v13, v24, 2.0, -v5
	v_sub_f32_e32 v23, v45, v47
	v_sub_f32_e32 v24, v46, v48
	v_fma_f32 v21, v32, 2.0, -v9
	v_fma_f32 v22, v33, 2.0, -v10
	;; [unrolled: 1-line block ×14, first 2 shown]
	ds_write2_b64 v86, v[11:12], v[5:6] offset0:72 offset1:172
	ds_write2_b64 v1, v[32:33], v[13:14] offset1:100
	ds_write2_b64 v72, v[34:35], v[17:18] offset1:100
	ds_write2_b64 v83, v[15:16], v[7:8] offset0:72 offset1:172
	ds_write2_b64 v73, v[38:39], v[21:22] offset1:100
	ds_write2_b64 v84, v[19:20], v[9:10] offset0:72 offset1:172
	;; [unrolled: 2-line block ×3, first 2 shown]
	s_waitcnt lgkmcnt(0)
	s_barrier
	buffer_gl0_inv
	ds_read2_b64 v[21:24], v56 offset0:16 offset1:141
	ds_read2_b64 v[17:20], v71 offset0:10 offset1:160
	;; [unrolled: 1-line block ×6, first 2 shown]
	ds_read_b64 v[65:66], v27
	ds_read_b64 v[61:62], v28
	;; [unrolled: 1-line block ×3, first 2 shown]
                                        ; implicit-def: $vgpr68
                                        ; implicit-def: $vgpr70
                                        ; implicit-def: $vgpr72
                                        ; implicit-def: $vgpr74
	s_and_saveexec_b32 s17, s0
	s_cbranch_execz .LBB0_16
; %bb.15:
	v_lshl_add_u32 v0, v76, 3, 0
	ds_read_b64 v[63:64], v25
	ds_read_b64 v[73:74], v0 offset:6200
	ds_read_b64 v[71:72], v0 offset:9400
	;; [unrolled: 1-line block ×4, first 2 shown]
.LBB0_16:
	s_or_b32 exec_lo, exec_lo, s17
	v_and_b32_e32 v0, 28, v29
	v_and_b32_e32 v25, 60, v81
	;; [unrolled: 1-line block ×3, first 2 shown]
	s_load_dwordx2 s[4:5], s[4:5], 0x8
	v_or_b32_e32 v82, 16, v75
	v_lshlrev_b32_e32 v0, 3, v0
	v_lshlrev_b32_e32 v25, 3, v25
	v_lshlrev_b32_e32 v26, 3, v26
	v_mul_lo_u32 v83, v57, v75
	v_mul_lo_u32 v85, v57, v82
	s_clause 0x5
	global_load_dwordx4 v[53:56], v0, s[6:7] offset:112
	global_load_dwordx4 v[49:52], v25, s[6:7] offset:112
	;; [unrolled: 1-line block ×6, first 2 shown]
	v_and_b32_e32 v0, 60, v37
	v_or_b32_e32 v84, 32, v75
	s_andn2_b32 vcc_lo, exec_lo, s1
	v_bfe_u32 v86, v83, 8, 8
	v_bfe_u32 v89, v85, 8, 8
	v_lshlrev_b32_e32 v0, 3, v0
	v_mul_lo_u32 v88, v57, v84
	s_clause 0x1
	global_load_dwordx4 v[37:40], v0, s[6:7] offset:112
	global_load_dwordx4 v[25:28], v0, s[6:7] offset:128
	v_mov_b32_e32 v0, 3
	v_lshl_or_b32 v86, v86, 3, 0x800
	v_lshlrev_b32_sdwa v87, v0, v83 dst_sel:DWORD dst_unused:UNUSED_PAD src0_sel:DWORD src1_sel:BYTE_0
	v_lshlrev_b32_sdwa v85, v0, v85 dst_sel:DWORD dst_unused:UNUSED_PAD src0_sel:DWORD src1_sel:BYTE_0
	s_waitcnt lgkmcnt(0)
	s_clause 0x1
	global_load_dwordx2 v[90:91], v87, s[4:5]
	global_load_dwordx2 v[92:93], v86, s[4:5]
	v_lshl_or_b32 v86, v89, 3, 0x800
	v_bfe_u32 v89, v88, 8, 8
	s_clause 0x1
	global_load_dwordx2 v[94:95], v85, s[4:5]
	global_load_dwordx2 v[96:97], v86, s[4:5]
	v_lshlrev_b32_sdwa v85, v0, v88 dst_sel:DWORD dst_unused:UNUSED_PAD src0_sel:DWORD src1_sel:BYTE_0
	v_lshl_or_b32 v86, v89, 3, 0x800
	s_clause 0x1
	global_load_dwordx2 v[98:99], v85, s[4:5]
	global_load_dwordx2 v[100:101], v86, s[4:5]
	v_or_b32_e32 v83, 48, v75
	v_mul_lo_u32 v87, v57, v83
	v_bfe_u32 v88, v87, 8, 8
	v_lshlrev_b32_sdwa v85, v0, v87 dst_sel:DWORD dst_unused:UNUSED_PAD src0_sel:DWORD src1_sel:BYTE_0
	v_and_b32_e32 v87, 15, v77
	v_lshl_or_b32 v86, v88, 3, 0x800
	s_clause 0x1
	global_load_dwordx2 v[102:103], v85, s[4:5]
	global_load_dwordx2 v[104:105], v86, s[4:5]
	v_or_b32_e32 v85, 64, v75
	v_and_b32_e32 v86, 15, v78
	v_mul_lo_u32 v107, v57, v87
	v_or_b32_e32 v111, 16, v87
	v_or_b32_e32 v113, 32, v87
	v_mul_lo_u32 v89, v57, v85
	v_mul_lo_u32 v106, v57, v86
	v_or_b32_e32 v108, 16, v86
	v_or_b32_e32 v109, 32, v86
	;; [unrolled: 1-line block ×6, first 2 shown]
	v_and_b32_e32 v88, 15, v79
	v_lshlrev_b32_sdwa v117, v0, v89 dst_sel:DWORD dst_unused:UNUSED_PAD src0_sel:DWORD src1_sel:BYTE_0
	v_mul_lo_u32 v115, v57, v86
	v_bfe_u32 v86, v89, 8, 8
	v_mul_lo_u32 v116, v57, v87
	v_bfe_u32 v87, v106, 8, 8
	v_bfe_u32 v89, v107, 8, 8
	v_mul_lo_u32 v110, v57, v88
	v_lshlrev_b32_sdwa v118, v0, v107 dst_sel:DWORD dst_unused:UNUSED_PAD src0_sel:DWORD src1_sel:BYTE_0
	v_mul_lo_u32 v108, v57, v108
	v_lshl_or_b32 v120, v87, 3, 0x800
	v_lshl_or_b32 v121, v89, 3, 0x800
	v_mul_lo_u32 v109, v57, v109
	v_mul_lo_u32 v111, v57, v111
	v_lshlrev_b32_sdwa v106, v0, v106 dst_sel:DWORD dst_unused:UNUSED_PAD src0_sel:DWORD src1_sel:BYTE_0
	v_bfe_u32 v107, v110, 8, 8
	v_lshlrev_b32_sdwa v119, v0, v110 dst_sel:DWORD dst_unused:UNUSED_PAD src0_sel:DWORD src1_sel:BYTE_0
	v_lshl_or_b32 v110, v86, 3, 0x800
	v_bfe_u32 v122, v108, 8, 8
	v_lshlrev_b32_sdwa v123, v0, v108 dst_sel:DWORD dst_unused:UNUSED_PAD src0_sel:DWORD src1_sel:BYTE_0
	v_lshl_or_b32 v124, v107, 3, 0x800
	v_bfe_u32 v125, v109, 8, 8
	v_lshlrev_b32_sdwa v126, v0, v109 dst_sel:DWORD dst_unused:UNUSED_PAD src0_sel:DWORD src1_sel:BYTE_0
	v_mul_lo_u32 v112, v57, v112
	v_mul_lo_u32 v113, v57, v113
	;; [unrolled: 1-line block ×3, first 2 shown]
	v_lshlrev_b32_sdwa v129, v0, v115 dst_sel:DWORD dst_unused:UNUSED_PAD src0_sel:DWORD src1_sel:BYTE_0
	v_bfe_u32 v133, v116, 8, 8
	v_lshlrev_b32_sdwa v134, v0, v116 dst_sel:DWORD dst_unused:UNUSED_PAD src0_sel:DWORD src1_sel:BYTE_0
	v_bfe_u32 v127, v112, 8, 8
	;; [unrolled: 2-line block ×3, first 2 shown]
	v_bfe_u32 v132, v114, 8, 8
	v_lshlrev_b32_sdwa v131, v0, v113 dst_sel:DWORD dst_unused:UNUSED_PAD src0_sel:DWORD src1_sel:BYTE_0
	s_waitcnt vmcnt(15)
	v_mul_f32_e32 v89, v54, v22
	v_mul_f32_e32 v87, v54, v21
	;; [unrolled: 1-line block ×4, first 2 shown]
	v_fma_f32 v89, v53, v21, -v89
	v_fmac_f32_e32 v87, v53, v22
	v_fma_f32 v56, v55, v19, -v54
	s_waitcnt vmcnt(14)
	v_mul_f32_e32 v19, v50, v24
	v_mul_f32_e32 v22, v50, v23
	;; [unrolled: 1-line block ×3, first 2 shown]
	v_fmac_f32_e32 v86, v55, v20
	v_bfe_u32 v20, v111, 8, 8
	v_fma_f32 v23, v49, v23, -v19
	v_mul_f32_e32 v19, v52, v14
	v_fmac_f32_e32 v53, v51, v14
	s_waitcnt vmcnt(13)
	v_mul_f32_e32 v14, v16, v48
	v_lshlrev_b32_sdwa v21, v0, v111 dst_sel:DWORD dst_unused:UNUSED_PAD src0_sel:DWORD src1_sel:BYTE_0
	v_fmac_f32_e32 v22, v49, v24
	v_fma_f32 v54, v51, v13, -v19
	v_mul_f32_e32 v19, v17, v46
	v_mul_f32_e32 v13, v18, v46
	v_fma_f32 v24, v15, v47, -v14
	s_waitcnt vmcnt(12)
	v_mul_f32_e32 v14, v42, v10
	v_bfe_u32 v52, v115, 8, 8
	v_fmac_f32_e32 v19, v18, v45
	v_mul_f32_e32 v18, v15, v48
	v_fma_f32 v13, v17, v45, -v13
	v_mul_f32_e32 v17, v42, v9
	v_fma_f32 v55, v41, v9, -v14
	s_waitcnt vmcnt(11)
	v_mul_f32_e32 v9, v34, v12
	v_fmac_f32_e32 v18, v16, v47
	s_clause 0x5
	global_load_dwordx2 v[46:47], v117, s[4:5]
	global_load_dwordx2 v[48:49], v110, s[4:5]
	;; [unrolled: 1-line block ×6, first 2 shown]
	v_mul_f32_e32 v15, v44, v8
	v_mul_f32_e32 v16, v44, v7
	v_fma_f32 v14, v33, v11, -v9
	v_mul_f32_e32 v9, v36, v2
	v_lshl_or_b32 v42, v122, 3, 0x800
	v_fma_f32 v7, v43, v7, -v15
	v_fmac_f32_e32 v16, v43, v8
	v_mul_f32_e32 v8, v34, v11
	v_mul_f32_e32 v15, v36, v1
	v_fma_f32 v9, v35, v1, -v9
	s_waitcnt vmcnt(16)
	v_mul_f32_e32 v1, v6, v30
	v_mul_f32_e32 v34, v5, v30
	v_fmac_f32_e32 v8, v33, v12
	v_fmac_f32_e32 v17, v41, v10
	v_lshl_or_b32 v41, v125, 3, 0x800
	v_fma_f32 v33, v5, v29, -v1
	v_mul_f32_e32 v1, v4, v32
	v_fmac_f32_e32 v34, v6, v29
	v_mul_f32_e32 v29, v3, v32
	v_lshl_or_b32 v43, v127, 3, 0x800
	v_lshl_or_b32 v12, v52, 3, 0x800
	;; [unrolled: 1-line block ×3, first 2 shown]
	v_fma_f32 v32, v3, v31, -v1
	s_waitcnt vmcnt(15)
	v_mul_f32_e32 v1, v74, v38
	v_lshlrev_b32_sdwa v45, v0, v114 dst_sel:DWORD dst_unused:UNUSED_PAD src0_sel:DWORD src1_sel:BYTE_0
	s_clause 0x3
	global_load_dwordx2 v[112:113], v119, s[4:5]
	global_load_dwordx2 v[114:115], v124, s[4:5]
	;; [unrolled: 1-line block ×4, first 2 shown]
	v_fmac_f32_e32 v15, v35, v2
	s_clause 0x3
	global_load_dwordx2 v[35:36], v126, s[4:5]
	global_load_dwordx2 v[118:119], v41, s[4:5]
	;; [unrolled: 1-line block ×4, first 2 shown]
	v_fmac_f32_e32 v29, v4, v31
	s_clause 0x1
	global_load_dwordx2 v[30:31], v129, s[4:5]
	global_load_dwordx2 v[122:123], v12, s[4:5]
	v_mul_f32_e32 v12, v73, v38
	s_clause 0x1
	global_load_dwordx2 v[124:125], v21, s[4:5]
	global_load_dwordx2 v[126:127], v20, s[4:5]
	v_mul_f32_e32 v3, v72, v40
	v_mul_f32_e32 v20, v71, v40
	v_lshl_or_b32 v44, v130, 3, 0x800
	v_lshl_or_b32 v2, v132, 3, 0x800
	v_fma_f32 v21, v73, v37, -v1
	s_waitcnt vmcnt(26)
	v_mul_f32_e32 v1, v70, v26
	v_fmac_f32_e32 v12, v74, v37
	v_fma_f32 v42, v71, v39, -v3
	v_fmac_f32_e32 v20, v72, v39
	s_clause 0x3
	global_load_dwordx2 v[37:38], v131, s[4:5]
	global_load_dwordx2 v[39:40], v44, s[4:5]
	;; [unrolled: 1-line block ×4, first 2 shown]
	v_mul_f32_e32 v2, v68, v28
	v_fma_f32 v44, v69, v25, -v1
	v_or_b32_e32 v1, 16, v88
	v_lshl_or_b32 v41, v133, 3, 0x800
	v_mul_f32_e32 v43, v69, v26
	v_fma_f32 v52, v67, v27, -v2
	v_or_b32_e32 v2, 32, v88
	v_mul_lo_u32 v1, v57, v1
	v_mul_f32_e32 v45, v67, v28
	s_waitcnt vmcnt(28)
	v_mul_f32_e32 v4, v91, v93
	v_or_b32_e32 v3, 48, v88
	v_mul_lo_u32 v2, v57, v2
	v_fmac_f32_e32 v43, v70, v25
	global_load_dwordx2 v[25:26], v134, s[4:5]
	v_fmac_f32_e32 v45, v68, v27
	global_load_dwordx2 v[27:28], v41, s[4:5]
	v_mul_f32_e32 v41, v90, v93
	v_bfe_u32 v67, v1, 8, 8
	v_fma_f32 v128, v90, v92, -v4
	v_bfe_u32 v4, v2, 8, 8
	v_mul_lo_u32 v3, v57, v3
	v_lshlrev_b32_sdwa v1, v0, v1 dst_sel:DWORD dst_unused:UNUSED_PAD src0_sel:DWORD src1_sel:BYTE_0
	v_fmac_f32_e32 v41, v91, v92
	s_waitcnt vmcnt(28)
	v_mul_f32_e32 v68, v95, v97
	s_waitcnt vmcnt(26)
	v_mul_f32_e32 v90, v99, v101
	v_lshl_or_b32 v91, v67, 3, 0x800
	v_lshl_or_b32 v4, v4, 3, 0x800
	v_mul_f32_e32 v129, v94, v97
	v_lshlrev_b32_sdwa v2, v0, v2 dst_sel:DWORD dst_unused:UNUSED_PAD src0_sel:DWORD src1_sel:BYTE_0
	v_bfe_u32 v92, v3, 8, 8
	v_fma_f32 v130, v94, v96, -v68
	v_mul_f32_e32 v101, v98, v101
	s_clause 0x1
	global_load_dwordx2 v[67:68], v1, s[4:5]
	global_load_dwordx2 v[69:70], v4, s[4:5]
	v_fma_f32 v98, v98, v100, -v90
	global_load_dwordx2 v[90:91], v91, s[4:5]
	v_fmac_f32_e32 v129, v95, v96
	v_lshl_or_b32 v96, v92, 3, 0x800
	global_load_dwordx2 v[92:93], v2, s[4:5]
	v_lshlrev_b32_sdwa v3, v0, v3 dst_sel:DWORD dst_unused:UNUSED_PAD src0_sel:DWORD src1_sel:BYTE_0
	s_clause 0x1
	global_load_dwordx2 v[94:95], v3, s[4:5]
	global_load_dwordx2 v[96:97], v96, s[4:5]
	s_waitcnt vmcnt(30)
	v_mul_f32_e32 v1, v103, v105
	v_fmac_f32_e32 v101, v99, v100
	v_mul_f32_e32 v4, v102, v105
	v_fma_f32 v99, v102, v104, -v1
	v_or_b32_e32 v1, 64, v88
	v_fmac_f32_e32 v4, v103, v104
	v_mul_lo_u32 v1, v57, v1
	v_lshlrev_b32_sdwa v0, v0, v1 dst_sel:DWORD dst_unused:UNUSED_PAD src0_sel:DWORD src1_sel:BYTE_0
	v_bfe_u32 v1, v1, 8, 8
	v_lshl_or_b32 v3, v1, 3, 0x800
	s_waitcnt vmcnt(28)
	v_mul_f32_e32 v2, v47, v49
	v_mul_f32_e32 v88, v46, v49
	s_waitcnt vmcnt(26)
	v_mul_f32_e32 v102, v50, v107
	v_sub_f32_e32 v49, v12, v45
	s_waitcnt vmcnt(24)
	v_mul_f32_e32 v103, v108, v111
	v_fma_f32 v100, v46, v48, -v2
	v_mul_f32_e32 v2, v51, v107
	v_fmac_f32_e32 v88, v47, v48
	v_mul_f32_e32 v46, v109, v111
	v_fmac_f32_e32 v102, v51, v106
	v_fmac_f32_e32 v103, v109, v110
	v_fma_f32 v104, v50, v106, -v2
	s_clause 0x1
	global_load_dwordx2 v[0:1], v0, s[4:5]
	global_load_dwordx2 v[2:3], v3, s[4:5]
	v_fma_f32 v105, v108, v110, -v46
	v_add_f32_e32 v50, v42, v44
	v_add_f32_e32 v51, v21, v52
	;; [unrolled: 1-line block ×3, first 2 shown]
	v_sub_f32_e32 v110, v42, v21
	v_sub_f32_e32 v111, v44, v52
	v_fma_f32 v50, -0.5, v50, v63
	v_fmac_f32_e32 v63, -0.5, v51
	v_sub_f32_e32 v48, v21, v52
	v_sub_f32_e32 v21, v21, v42
	v_add_f32_e32 v110, v110, v111
	v_sub_f32_e32 v111, v87, v16
	s_waitcnt vmcnt(24)
	v_mul_f32_e32 v47, v113, v115
	v_mul_f32_e32 v106, v112, v115
	s_waitcnt vmcnt(22)
	v_mul_f32_e32 v46, v11, v117
	v_mul_f32_e32 v109, v10, v117
	v_add_f32_e32 v115, v64, v12
	v_fma_f32 v108, v112, v114, -v47
	s_waitcnt vmcnt(20)
	v_mul_f32_e32 v47, v36, v119
	s_waitcnt vmcnt(16)
	v_mul_f32_e32 v117, v30, v123
	v_fmac_f32_e32 v106, v113, v114
	v_fma_f32 v112, v10, v116, -v46
	v_mul_f32_e32 v113, v35, v119
	v_mul_f32_e32 v46, v6, v121
	v_fma_f32 v35, v35, v118, -v47
	v_mul_f32_e32 v114, v5, v121
	v_mul_f32_e32 v47, v31, v123
	v_fmac_f32_e32 v117, v31, v122
	v_fmac_f32_e32 v109, v11, v116
	v_add_f32_e32 v10, v20, v43
	v_add_f32_e32 v11, v12, v45
	s_waitcnt vmcnt(10)
	v_mul_f32_e32 v31, v72, v74
	v_mul_f32_e32 v74, v71, v74
	v_fmac_f32_e32 v113, v36, v118
	v_sub_f32_e32 v36, v20, v12
	v_fma_f32 v116, v5, v120, -v46
	v_fmac_f32_e32 v114, v6, v120
	v_sub_f32_e32 v5, v43, v45
	v_mul_f32_e32 v6, v125, v127
	v_fma_f32 v118, v30, v122, -v47
	v_mul_f32_e32 v30, v38, v40
	v_mul_f32_e32 v121, v37, v40
	v_fma_f32 v71, v71, v73, -v31
	v_fmac_f32_e32 v74, v72, v73
	v_add_f32_e32 v31, v66, v87
	v_mul_f32_e32 v119, v124, v127
	v_fma_f32 v120, v124, v126, -v6
	s_waitcnt vmcnt(8)
	v_mul_f32_e32 v72, v25, v28
	v_fma_f32 v122, v37, v39, -v30
	v_fmac_f32_e32 v121, v38, v39
	v_add_f32_e32 v37, v86, v17
	v_mul_f32_e32 v38, v26, v28
	v_add_f32_e32 v28, v87, v16
	v_fmac_f32_e32 v72, v26, v27
	v_add_f32_e32 v26, v89, v7
	v_fma_f32 v51, -0.5, v10, v64
	v_fmac_f32_e32 v64, -0.5, v11
	v_add_f32_e32 v10, v56, v55
	v_add_f32_e32 v124, v36, v5
	;; [unrolled: 1-line block ×4, first 2 shown]
	v_sub_f32_e32 v46, v20, v43
	v_sub_f32_e32 v47, v42, v44
	;; [unrolled: 1-line block ×4, first 2 shown]
	v_fma_f32 v73, v25, v27, -v38
	s_waitcnt vmcnt(5)
	v_mul_f32_e32 v31, v68, v91
	v_sub_f32_e32 v27, v86, v17
	v_sub_f32_e32 v38, v56, v55
	;; [unrolled: 1-line block ×4, first 2 shown]
	v_fma_f32 v87, -0.5, v37, v66
	v_fmac_f32_e32 v66, -0.5, v28
	v_fma_f32 v26, -0.5, v26, v65
	v_mul_f32_e32 v86, v67, v91
	v_fma_f32 v65, -0.5, v10, v65
	v_add_f32_e32 v5, v5, v56
	s_waitcnt vmcnt(4)
	v_mul_f32_e32 v10, v93, v70
	v_fma_f32 v56, v67, v90, -v31
	v_mul_f32_e32 v67, v92, v70
	v_sub_f32_e32 v25, v17, v16
	v_sub_f32_e32 v123, v89, v7
	v_fmac_f32_e32 v86, v68, v90
	v_fmamk_f32 v68, v46, 0xbf737871, v63
	v_fmac_f32_e32 v63, 0x3f737871, v46
	v_fma_f32 v70, v92, v69, -v10
	v_fmac_f32_e32 v67, v93, v69
	v_fmamk_f32 v69, v47, 0x3f737871, v64
	v_fmac_f32_e32 v64, 0xbf737871, v47
	v_fmamk_f32 v90, v38, 0x3f737871, v66
	v_fmac_f32_e32 v66, 0xbf737871, v38
	v_sub_f32_e32 v30, v55, v7
	v_add_f32_e32 v25, v39, v25
	s_waitcnt vmcnt(2)
	v_mul_f32_e32 v37, v94, v97
	v_fmamk_f32 v89, v27, 0xbf737871, v26
	v_fmac_f32_e32 v26, 0x3f737871, v27
	v_fmac_f32_e32 v64, 0x3f167918, v48
	;; [unrolled: 1-line block ×4, first 2 shown]
	v_add_f32_e32 v6, v6, v30
	v_mul_f32_e32 v31, v95, v97
	v_add_f32_e32 v10, v11, v17
	v_fmac_f32_e32 v37, v95, v96
	v_fmac_f32_e32 v26, 0xbf167918, v111
	;; [unrolled: 1-line block ×5, first 2 shown]
	v_sub_f32_e32 v28, v16, v17
	v_add_f32_e32 v11, v5, v55
	v_fmamk_f32 v17, v123, 0xbf737871, v87
	v_fma_f32 v31, v94, v96, -v31
	v_add_f32_e32 v16, v10, v16
	v_fmac_f32_e32 v26, 0x3e9e377a, v6
	v_mul_f32_e32 v10, v64, v37
	v_mul_f32_e32 v5, v63, v37
	;; [unrolled: 1-line block ×3, first 2 shown]
	v_sub_f32_e32 v30, v7, v55
	v_add_f32_e32 v7, v11, v7
	v_mul_f32_e32 v11, v26, v4
	v_fma_f32 v4, v63, v31, -v10
	v_fma_f32 v10, v26, v99, -v37
	v_add_f32_e32 v26, v40, v28
	v_fmamk_f32 v28, v111, 0x3f737871, v65
	v_fmac_f32_e32 v17, 0xbf167918, v38
	v_fmac_f32_e32 v5, v64, v31
	v_mul_f32_e32 v31, v16, v41
	v_mul_f32_e32 v41, v7, v41
	v_add_f32_e32 v30, v36, v30
	v_fmac_f32_e32 v28, 0x3f167918, v27
	v_fmac_f32_e32 v17, 0x3e9e377a, v26
	;; [unrolled: 1-line block ×3, first 2 shown]
	v_fma_f32 v40, v7, v128, -v31
	v_fmac_f32_e32 v41, v16, v128
	v_fmac_f32_e32 v28, 0x3e9e377a, v30
	v_mul_f32_e32 v7, v17, v129
	v_fmac_f32_e32 v87, 0x3f737871, v123
	v_fmac_f32_e32 v65, 0xbf737871, v111
	;; [unrolled: 1-line block ×3, first 2 shown]
	v_add_f32_e32 v16, v53, v8
	v_add_f32_e32 v25, v22, v15
	v_fmac_f32_e32 v89, 0x3f167918, v111
	v_mul_f32_e32 v39, v28, v129
	v_fmac_f32_e32 v87, 0x3f167918, v38
	v_fmac_f32_e32 v65, 0xbf167918, v27
	v_fma_f32 v38, v28, v130, -v7
	v_fma_f32 v28, -0.5, v16, v62
	v_add_f32_e32 v16, v23, v9
	v_add_f32_e32 v27, v62, v22
	v_fmac_f32_e32 v62, -0.5, v25
	v_sub_f32_e32 v25, v54, v14
	v_fmac_f32_e32 v11, v66, v99
	v_fmac_f32_e32 v89, 0x3e9e377a, v6
	;; [unrolled: 1-line block ×4, first 2 shown]
	v_mul_f32_e32 v6, v90, v101
	v_sub_f32_e32 v30, v53, v22
	v_sub_f32_e32 v31, v8, v15
	v_fma_f32 v55, -0.5, v16, v61
	v_sub_f32_e32 v63, v53, v8
	v_fmamk_f32 v64, v25, 0x3f737871, v62
	v_fmac_f32_e32 v62, 0xbf737871, v25
	v_sub_f32_e32 v66, v23, v9
	v_mul_f32_e32 v37, v89, v101
	v_fmac_f32_e32 v39, v17, v130
	v_mul_f32_e32 v7, v87, v88
	v_mul_f32_e32 v17, v65, v88
	v_fma_f32 v36, v89, v98, -v6
	v_sub_f32_e32 v6, v54, v23
	v_sub_f32_e32 v26, v14, v9
	v_add_f32_e32 v30, v30, v31
	v_fmamk_f32 v88, v63, 0xbf737871, v55
	v_fmac_f32_e32 v55, 0x3f737871, v63
	v_sub_f32_e32 v89, v22, v15
	v_fmac_f32_e32 v62, 0x3f167918, v66
	v_fma_f32 v16, v65, v100, -v7
	v_add_f32_e32 v26, v6, v26
	v_add_f32_e32 v7, v27, v53
	v_fmac_f32_e32 v55, 0xbf167918, v89
	v_fmac_f32_e32 v62, 0x3e9e377a, v30
	;; [unrolled: 1-line block ×3, first 2 shown]
	v_add_f32_e32 v6, v61, v23
	v_add_f32_e32 v31, v54, v14
	v_fmac_f32_e32 v55, 0x3e9e377a, v26
	v_mul_f32_e32 v27, v62, v114
	v_add_f32_e32 v87, v7, v8
	v_add_f32_e32 v65, v6, v54
	v_sub_f32_e32 v22, v22, v53
	v_mul_f32_e32 v7, v55, v114
	v_fma_f32 v6, v55, v116, -v27
	v_fma_f32 v55, -0.5, v31, v61
	v_add_f32_e32 v31, v87, v15
	v_sub_f32_e32 v8, v15, v8
	v_fmamk_f32 v15, v66, 0xbf737871, v28
	v_add_f32_e32 v27, v65, v14
	v_sub_f32_e32 v23, v23, v54
	v_sub_f32_e32 v14, v9, v14
	v_fmamk_f32 v53, v89, 0x3f737871, v55
	v_add_f32_e32 v8, v22, v8
	v_fmac_f32_e32 v15, 0xbf167918, v25
	v_fmac_f32_e32 v28, 0x3f737871, v66
	v_add_f32_e32 v9, v27, v9
	v_add_f32_e32 v27, v23, v14
	v_fmac_f32_e32 v53, 0x3f167918, v63
	v_mul_f32_e32 v14, v31, v102
	v_fmac_f32_e32 v15, 0x3e9e377a, v8
	v_fmac_f32_e32 v55, 0xbf737871, v89
	;; [unrolled: 1-line block ×3, first 2 shown]
	v_mul_f32_e32 v23, v9, v102
	v_fmac_f32_e32 v53, 0x3e9e377a, v27
	v_fma_f32 v22, v9, v104, -v14
	v_fmac_f32_e32 v64, 0xbf167918, v66
	v_mul_f32_e32 v9, v15, v109
	v_fmac_f32_e32 v55, 0xbf167918, v63
	v_fmac_f32_e32 v28, 0x3e9e377a, v8
	v_add_f32_e32 v8, v18, v34
	v_add_f32_e32 v25, v19, v29
	v_fmac_f32_e32 v23, v31, v104
	v_mul_f32_e32 v31, v53, v109
	v_fmac_f32_e32 v88, 0x3f167918, v89
	v_fmac_f32_e32 v64, 0x3e9e377a, v30
	v_fma_f32 v30, v53, v112, -v9
	v_fmac_f32_e32 v55, 0x3e9e377a, v27
	v_fma_f32 v53, -0.5, v8, v60
	v_add_f32_e32 v8, v60, v19
	v_add_f32_e32 v27, v13, v32
	v_fmac_f32_e32 v60, -0.5, v25
	v_sub_f32_e32 v54, v24, v33
	v_fmac_f32_e32 v7, v62, v116
	v_fmac_f32_e32 v88, 0x3e9e377a, v26
	v_mul_f32_e32 v9, v64, v113
	v_sub_f32_e32 v25, v18, v19
	v_sub_f32_e32 v61, v34, v29
	v_fma_f32 v62, -0.5, v27, v59
	v_sub_f32_e32 v63, v18, v34
	v_fmamk_f32 v65, v54, 0x3f737871, v60
	v_fmac_f32_e32 v60, 0xbf737871, v54
	v_sub_f32_e32 v66, v13, v32
	v_fmac_f32_e32 v31, v15, v112
	v_mul_f32_e32 v15, v88, v113
	v_fma_f32 v14, v88, v35, -v9
	v_sub_f32_e32 v9, v24, v13
	v_sub_f32_e32 v26, v33, v32
	v_add_f32_e32 v61, v25, v61
	v_fmamk_f32 v87, v63, 0xbf737871, v62
	v_fmac_f32_e32 v62, 0x3f737871, v63
	v_sub_f32_e32 v88, v19, v29
	v_fmac_f32_e32 v60, 0x3f167918, v66
	v_mul_f32_e32 v25, v28, v117
	v_add_f32_e32 v89, v9, v26
	v_mul_f32_e32 v27, v55, v117
	v_fmac_f32_e32 v62, 0xbf167918, v88
	v_fmac_f32_e32 v60, 0x3e9e377a, v61
	;; [unrolled: 1-line block ×3, first 2 shown]
	v_fma_f32 v26, v55, v118, -v25
	v_fmac_f32_e32 v27, v28, v118
	v_fmac_f32_e32 v62, 0x3e9e377a, v89
	v_mul_f32_e32 v25, v60, v74
	v_add_f32_e32 v28, v59, v13
	v_add_f32_e32 v35, v24, v33
	;; [unrolled: 1-line block ×3, first 2 shown]
	v_sub_f32_e32 v18, v19, v18
	v_fma_f32 v8, v62, v71, -v25
	v_add_f32_e32 v25, v28, v24
	v_fma_f32 v59, -0.5, v35, v59
	v_add_f32_e32 v28, v55, v34
	v_sub_f32_e32 v19, v29, v34
	v_fmamk_f32 v34, v66, 0xbf737871, v53
	v_add_f32_e32 v25, v25, v33
	v_sub_f32_e32 v13, v13, v24
	v_sub_f32_e32 v24, v32, v33
	v_add_f32_e32 v18, v18, v19
	v_fmamk_f32 v19, v88, 0x3f737871, v59
	v_fmac_f32_e32 v34, 0xbf167918, v54
	v_fmac_f32_e32 v119, v125, v126
	v_add_f32_e32 v28, v28, v29
	v_add_f32_e32 v29, v25, v32
	v_add_f32_e32 v13, v13, v24
	v_fmac_f32_e32 v19, 0x3f167918, v63
	v_fmac_f32_e32 v34, 0x3e9e377a, v18
	v_mul_f32_e32 v24, v28, v103
	v_mul_f32_e32 v25, v29, v103
	v_fmac_f32_e32 v59, 0xbf737871, v88
	v_fmac_f32_e32 v19, 0x3e9e377a, v13
	v_mul_f32_e32 v32, v34, v119
	v_fma_f32 v24, v29, v105, -v24
	v_fmac_f32_e32 v65, 0xbf167918, v66
	v_fmac_f32_e32 v25, v28, v105
	v_mul_f32_e32 v29, v19, v119
	v_fma_f32 v28, v19, v120, -v32
	v_fmac_f32_e32 v53, 0x3f737871, v66
	v_fmac_f32_e32 v59, 0xbf167918, v63
	v_add_f32_e32 v32, v115, v20
	v_fmac_f32_e32 v87, 0x3f167918, v88
	v_fmac_f32_e32 v65, 0x3e9e377a, v61
	v_fmac_f32_e32 v29, v34, v120
	v_fmac_f32_e32 v53, 0x3f167918, v54
	v_add_f32_e32 v34, v107, v42
	v_fmac_f32_e32 v59, 0x3e9e377a, v13
	v_add_f32_e32 v13, v32, v43
	v_fmac_f32_e32 v87, 0x3e9e377a, v89
	v_mul_f32_e32 v19, v65, v121
	v_fmac_f32_e32 v53, 0x3e9e377a, v18
	v_add_f32_e32 v18, v34, v44
	v_mul_f32_e32 v35, v59, v72
	v_add_f32_e32 v54, v13, v45
	v_sub_f32_e32 v20, v12, v20
	v_sub_f32_e32 v42, v45, v43
	v_fmamk_f32 v43, v48, 0xbf737871, v51
	v_sub_f32_e32 v44, v52, v44
	v_fmamk_f32 v45, v49, 0x3f737871, v50
	v_fma_f32 v32, v87, v122, -v19
	v_mul_f32_e32 v19, v53, v72
	v_add_f32_e32 v18, v18, v52
	v_fmac_f32_e32 v35, v53, v73
	v_add_f32_e32 v52, v20, v42
	v_fmac_f32_e32 v43, 0xbf167918, v47
	;; [unrolled: 2-line block ×3, first 2 shown]
	v_fmac_f32_e32 v69, 0xbf167918, v48
	v_fmac_f32_e32 v68, 0x3f167918, v49
	v_fma_f32 v34, v59, v73, -v19
	v_mul_f32_e32 v19, v54, v106
	v_fmac_f32_e32 v43, 0x3e9e377a, v52
	v_fmac_f32_e32 v45, 0x3e9e377a, v53
	;; [unrolled: 1-line block ×4, first 2 shown]
	v_mul_f32_e32 v9, v62, v74
	v_mul_f32_e32 v33, v87, v121
	;; [unrolled: 1-line block ×3, first 2 shown]
	v_fma_f32 v12, v18, v108, -v19
	v_mul_f32_e32 v18, v43, v86
	v_mul_f32_e32 v19, v45, v86
	;; [unrolled: 1-line block ×4, first 2 shown]
	v_fmac_f32_e32 v37, v90, v98
	v_fmac_f32_e32 v9, v60, v71
	;; [unrolled: 1-line block ×4, first 2 shown]
	v_fma_f32 v18, v45, v56, -v18
	v_fmac_f32_e32 v19, v43, v56
	v_fma_f32 v20, v68, v70, -v20
	v_fmac_f32_e32 v21, v69, v70
	s_cbranch_vccnz .LBB0_20
; %bb.17:
	v_mad_u64_u32 v[42:43], null, s12, v76, 0
	v_mad_u64_u32 v[44:45], null, s8, v75, 0
	s_lshl_b64 s[4:5], s[2:3], 3
	v_mad_u64_u32 v[54:55], null, s8, v82, 0
	s_add_u32 s1, s14, s4
	s_addc_u32 s4, s15, s5
	v_mad_u64_u32 v[59:60], null, s13, v76, v[43:44]
	v_mad_u64_u32 v[62:63], null, s9, v75, v[45:46]
	;; [unrolled: 1-line block ×4, first 2 shown]
	v_mov_b32_e32 v43, v59
	v_mov_b32_e32 v45, v62
	;; [unrolled: 1-line block ×3, first 2 shown]
	v_lshlrev_b64 v[42:43], 3, v[42:43]
	v_lshlrev_b64 v[44:45], 3, v[44:45]
	v_mad_u64_u32 v[61:62], null, s9, v82, v[55:56]
	v_add_co_u32 v42, vcc_lo, s1, v42
	v_add_co_ci_u32_e32 v43, vcc_lo, s4, v43, vcc_lo
	v_mad_u64_u32 v[65:66], null, s9, v84, v[56:57]
	v_add_co_u32 v44, vcc_lo, v42, v44
	v_add_co_ci_u32_e32 v45, vcc_lo, v43, v45, vcc_lo
	v_mov_b32_e32 v55, v61
	v_and_b32_e32 v56, 0x1c0, v81
	v_mov_b32_e32 v61, v65
	global_store_dwordx2 v[44:45], v[40:41], off
	v_mov_b32_e32 v44, v64
	v_mad_u64_u32 v[65:66], null, s8, v85, 0
	v_add_nc_u32_e32 v67, v56, v78
	v_lshlrev_b64 v[54:55], 3, v[54:55]
	v_mad_u64_u32 v[44:45], null, s9, v83, v[44:45]
	v_lshlrev_b64 v[59:60], 3, v[60:61]
	v_mad_u64_u32 v[61:62], null, s8, v67, 0
	v_mov_b32_e32 v45, v66
	v_add_co_u32 v54, vcc_lo, v42, v54
	v_mov_b32_e32 v64, v44
	v_add_co_ci_u32_e32 v55, vcc_lo, v43, v55, vcc_lo
	v_mad_u64_u32 v[44:45], null, s9, v85, v[45:46]
	v_add_co_u32 v59, vcc_lo, v42, v59
                                        ; kill: def $vgpr45 killed $sgpr0 killed $exec
	global_store_dwordx2 v[54:55], v[38:39], off
	v_lshlrev_b64 v[54:55], 3, v[63:64]
	v_add_co_ci_u32_e32 v60, vcc_lo, v43, v60, vcc_lo
	v_mov_b32_e32 v66, v44
	v_mov_b32_e32 v44, v62
	v_add_nc_u32_e32 v68, 16, v67
	global_store_dwordx2 v[59:60], v[36:37], off
	v_add_co_u32 v54, vcc_lo, v42, v54
	v_mad_u64_u32 v[44:45], null, s9, v67, v[44:45]
	v_lshlrev_b64 v[59:60], 3, v[65:66]
	v_mad_u64_u32 v[63:64], null, s8, v68, 0
	v_add_co_ci_u32_e32 v55, vcc_lo, v43, v55, vcc_lo
	v_add_nc_u32_e32 v65, 32, v67
	v_mov_b32_e32 v62, v44
	v_add_co_u32 v59, vcc_lo, v42, v59
	global_store_dwordx2 v[54:55], v[10:11], off
	v_add_co_ci_u32_e32 v60, vcc_lo, v43, v60, vcc_lo
	v_lshlrev_b64 v[55:56], 3, v[61:62]
	v_mov_b32_e32 v54, v64
	v_mad_u64_u32 v[44:45], null, s8, v65, 0
	global_store_dwordx2 v[59:60], v[16:17], off
	s_mov_b32 s1, 0
	v_mad_u64_u32 v[59:60], null, s9, v68, v[54:55]
	v_add_co_u32 v54, vcc_lo, v42, v55
	v_add_co_ci_u32_e32 v55, vcc_lo, v43, v56, vcc_lo
	v_mad_u64_u32 v[60:61], null, s9, v65, v[45:46]
	v_mov_b32_e32 v64, v59
	v_add_nc_u32_e32 v65, 48, v67
	global_store_dwordx2 v[54:55], v[22:23], off
	v_lshlrev_b64 v[54:55], 3, v[63:64]
	v_add_nc_u32_e32 v64, 64, v67
	v_mov_b32_e32 v45, v60
	v_mad_u64_u32 v[59:60], null, s8, v65, 0
	v_and_b32_e32 v63, 0x1c0, v80
	v_mad_u64_u32 v[61:62], null, s8, v64, 0
	v_lshlrev_b64 v[44:45], 3, v[44:45]
	v_add_co_u32 v54, vcc_lo, v42, v54
	v_mov_b32_e32 v56, v60
	v_add_nc_u32_e32 v66, v63, v77
	v_add_co_ci_u32_e32 v55, vcc_lo, v43, v55, vcc_lo
	v_mov_b32_e32 v60, v62
	v_mad_u64_u32 v[62:63], null, s9, v65, v[56:57]
	v_add_co_u32 v44, vcc_lo, v42, v44
	v_mad_u64_u32 v[63:64], null, s9, v64, v[60:61]
	v_mad_u64_u32 v[64:65], null, s8, v66, 0
	v_add_co_ci_u32_e32 v45, vcc_lo, v43, v45, vcc_lo
	v_mov_b32_e32 v60, v62
	global_store_dwordx2 v[54:55], v[30:31], off
	v_mov_b32_e32 v62, v63
	global_store_dwordx2 v[44:45], v[14:15], off
	v_mov_b32_e32 v54, v65
	v_lshlrev_b64 v[44:45], 3, v[59:60]
	v_add_nc_u32_e32 v63, 32, v66
	v_add_nc_u32_e32 v67, 48, v66
	v_mad_u64_u32 v[54:55], null, s9, v66, v[54:55]
	v_lshlrev_b64 v[55:56], 3, v[61:62]
	v_add_nc_u32_e32 v61, 16, v66
	v_add_co_u32 v44, vcc_lo, v42, v44
	v_add_co_ci_u32_e32 v45, vcc_lo, v43, v45, vcc_lo
	v_mov_b32_e32 v65, v54
	v_add_co_u32 v54, vcc_lo, v42, v55
	v_mad_u64_u32 v[59:60], null, s8, v61, 0
	v_add_co_ci_u32_e32 v55, vcc_lo, v43, v56, vcc_lo
	global_store_dwordx2 v[44:45], v[6:7], off
	v_lshlrev_b64 v[44:45], 3, v[64:65]
	v_add_nc_u32_e32 v66, 64, v66
	global_store_dwordx2 v[54:55], v[26:27], off
	v_mad_u64_u32 v[55:56], null, s8, v63, 0
	v_mov_b32_e32 v54, v60
	v_add_co_u32 v44, vcc_lo, v42, v44
	v_add_co_ci_u32_e32 v45, vcc_lo, v43, v45, vcc_lo
	v_mad_u64_u32 v[60:61], null, s9, v61, v[54:55]
	v_mov_b32_e32 v54, v56
	v_mad_u64_u32 v[61:62], null, s8, v67, 0
	global_store_dwordx2 v[44:45], v[24:25], off
	v_mad_u64_u32 v[63:64], null, s9, v63, v[54:55]
	v_mad_u64_u32 v[64:65], null, s8, v66, 0
	v_mov_b32_e32 v44, v62
	v_lshlrev_b64 v[59:60], 3, v[59:60]
	v_mov_b32_e32 v56, v63
	v_mov_b32_e32 v45, v65
	v_add_co_u32 v59, vcc_lo, v42, v59
	v_lshlrev_b64 v[54:55], 3, v[55:56]
	v_add_co_ci_u32_e32 v60, vcc_lo, v43, v60, vcc_lo
	v_mad_u64_u32 v[62:63], null, s9, v67, v[44:45]
	v_mad_u64_u32 v[44:45], null, s9, v66, v[45:46]
	v_add_co_u32 v54, vcc_lo, v42, v54
	v_add_co_ci_u32_e32 v55, vcc_lo, v43, v55, vcc_lo
	global_store_dwordx2 v[59:60], v[28:29], off
	v_mov_b32_e32 v65, v44
	v_lshlrev_b64 v[44:45], 3, v[61:62]
	global_store_dwordx2 v[54:55], v[32:33], off
	v_lshlrev_b64 v[54:55], 3, v[64:65]
	v_add_co_u32 v44, vcc_lo, v42, v44
	v_add_co_ci_u32_e32 v45, vcc_lo, v43, v45, vcc_lo
	v_add_co_u32 v54, vcc_lo, v42, v54
	v_add_co_ci_u32_e32 v55, vcc_lo, v43, v55, vcc_lo
	global_store_dwordx2 v[44:45], v[8:9], off
                                        ; implicit-def: $vgpr44_vgpr45
	global_store_dwordx2 v[54:55], v[34:35], off
	s_and_saveexec_b32 s4, s0
	s_cbranch_execz .LBB0_19
; %bb.18:
	v_add_nc_u32_e32 v56, 31, v75
	v_add_nc_u32_e32 v66, 47, v75
	v_mad_u64_u32 v[44:45], null, s8, v79, 0
	v_add_nc_u32_e32 v67, 63, v75
	v_mad_u64_u32 v[54:55], null, s8, v56, 0
	v_mad_u64_u32 v[59:60], null, s8, v66, 0
	s_mov_b32 s16, exec_lo
	v_mad_u64_u32 v[61:62], null, s9, v79, v[45:46]
	v_mad_u64_u32 v[62:63], null, s8, v67, 0
	v_mov_b32_e32 v45, v55
	v_mov_b32_e32 v55, v60
	v_mad_u64_u32 v[64:65], null, s9, v56, v[45:46]
	v_mov_b32_e32 v45, v61
	v_mad_u64_u32 v[60:61], null, s9, v66, v[55:56]
	v_add_nc_u32_e32 v61, 0x4f, v75
	v_mov_b32_e32 v56, v63
	v_lshlrev_b64 v[44:45], 3, v[44:45]
	v_mov_b32_e32 v55, v64
	v_mad_u64_u32 v[64:65], null, s8, v61, 0
	v_mad_u64_u32 v[66:67], null, s9, v67, v[56:57]
	v_add_co_u32 v67, vcc_lo, v42, v44
	v_add_co_ci_u32_e32 v68, vcc_lo, v43, v45, vcc_lo
	v_mov_b32_e32 v44, v65
                                        ; kill: def $vgpr45 killed $sgpr0 killed $exec
	v_lshlrev_b64 v[54:55], 3, v[54:55]
	v_mov_b32_e32 v63, v66
	v_lshlrev_b64 v[59:60], 3, v[59:60]
	v_mad_u64_u32 v[44:45], null, s9, v61, v[44:45]
	v_add_co_u32 v54, vcc_lo, v42, v54
	v_lshlrev_b64 v[61:62], 3, v[62:63]
	v_add_co_ci_u32_e32 v55, vcc_lo, v43, v55, vcc_lo
	v_add_co_u32 v59, vcc_lo, v42, v59
	v_mov_b32_e32 v65, v44
	v_add_co_ci_u32_e32 v60, vcc_lo, v43, v60, vcc_lo
	v_add_co_u32 v61, vcc_lo, v42, v61
	v_lshlrev_b64 v[44:45], 3, v[64:65]
	v_add_co_ci_u32_e32 v62, vcc_lo, v43, v62, vcc_lo
	global_store_dwordx2 v[67:68], v[12:13], off
	global_store_dwordx2 v[54:55], v[18:19], off
	;; [unrolled: 1-line block ×4, first 2 shown]
	v_add_co_u32 v44, vcc_lo, v42, v44
	v_add_co_ci_u32_e32 v45, vcc_lo, v43, v45, vcc_lo
.LBB0_19:
	s_or_b32 exec_lo, exec_lo, s4
	s_and_b32 vcc_lo, exec_lo, s1
	s_cbranch_vccnz .LBB0_21
	s_branch .LBB0_26
.LBB0_20:
                                        ; implicit-def: $vgpr44_vgpr45
	s_cbranch_execz .LBB0_26
.LBB0_21:
	s_mov_b32 s1, exec_lo
                                        ; implicit-def: $vgpr44_vgpr45
	v_cmpx_gt_u64_e64 s[10:11], v[57:58]
	s_cbranch_execz .LBB0_25
; %bb.22:
	v_mad_u64_u32 v[42:43], null, s12, v76, 0
	v_mad_u64_u32 v[44:45], null, s8, v75, 0
	;; [unrolled: 1-line block ×3, first 2 shown]
	s_lshl_b64 s[2:3], s[2:3], 3
	s_add_u32 s2, s14, s2
	s_addc_u32 s3, s15, s3
	v_mad_u64_u32 v[56:57], null, s13, v76, v[43:44]
	v_mov_b32_e32 v43, v55
	v_mad_u64_u32 v[57:58], null, s9, v75, v[45:46]
	v_mad_u64_u32 v[58:59], null, s8, v84, 0
	;; [unrolled: 1-line block ×3, first 2 shown]
	v_mov_b32_e32 v43, v56
	v_mov_b32_e32 v45, v57
	;; [unrolled: 1-line block ×3, first 2 shown]
	v_lshlrev_b64 v[42:43], 3, v[42:43]
	v_mov_b32_e32 v55, v60
	v_lshlrev_b64 v[44:45], 3, v[44:45]
	v_mad_u64_u32 v[60:61], null, s8, v83, 0
	v_mad_u64_u32 v[56:57], null, s9, v84, v[56:57]
	v_add_co_u32 v42, vcc_lo, s2, v42
	v_add_co_ci_u32_e32 v43, vcc_lo, s3, v43, vcc_lo
	v_lshlrev_b64 v[54:55], 3, v[54:55]
	v_add_co_u32 v44, vcc_lo, v42, v44
	v_add_co_ci_u32_e32 v45, vcc_lo, v43, v45, vcc_lo
	v_mov_b32_e32 v59, v56
	s_mov_b32 s3, s16
	global_store_dwordx2 v[44:45], v[40:41], off
	v_add_co_u32 v40, vcc_lo, v42, v54
	v_mad_u64_u32 v[44:45], null, s8, v85, 0
	v_add_co_ci_u32_e32 v41, vcc_lo, v43, v55, vcc_lo
	v_mov_b32_e32 v54, v61
	v_and_b32_e32 v55, 0x1c0, v81
	global_store_dwordx2 v[40:41], v[38:39], off
	v_lshlrev_b64 v[38:39], 3, v[58:59]
	v_mad_u64_u32 v[40:41], null, s9, v83, v[54:55]
	v_mov_b32_e32 v41, v45
	v_add_nc_u32_e32 v59, v55, v78
	v_add_co_u32 v38, vcc_lo, v42, v38
	v_add_co_ci_u32_e32 v39, vcc_lo, v43, v39, vcc_lo
	v_mad_u64_u32 v[54:55], null, s9, v85, v[41:42]
	v_mad_u64_u32 v[55:56], null, s8, v59, 0
	v_add_nc_u32_e32 v58, 16, v59
	v_mov_b32_e32 v61, v40
	global_store_dwordx2 v[38:39], v[36:37], off
	v_mov_b32_e32 v45, v54
	v_mad_u64_u32 v[39:40], null, s8, v58, 0
	v_lshlrev_b64 v[36:37], 3, v[60:61]
	v_mov_b32_e32 v38, v56
	v_lshlrev_b64 v[44:45], 3, v[44:45]
	v_add_nc_u32_e32 v54, 32, v59
	v_add_co_u32 v36, vcc_lo, v42, v36
	v_mad_u64_u32 v[56:57], null, s9, v59, v[38:39]
	v_mov_b32_e32 v38, v40
	v_add_co_ci_u32_e32 v37, vcc_lo, v43, v37, vcc_lo
	v_add_co_u32 v40, vcc_lo, v42, v44
	v_add_co_ci_u32_e32 v41, vcc_lo, v43, v45, vcc_lo
	v_mad_u64_u32 v[44:45], null, s9, v58, v[38:39]
	v_mad_u64_u32 v[57:58], null, s8, v54, 0
	global_store_dwordx2 v[36:37], v[10:11], off
	global_store_dwordx2 v[40:41], v[16:17], off
	v_add_nc_u32_e32 v41, 48, v59
	v_lshlrev_b64 v[10:11], 3, v[55:56]
	v_mov_b32_e32 v40, v44
	v_add_nc_u32_e32 v44, 64, v59
	v_mov_b32_e32 v16, v58
	v_mad_u64_u32 v[36:37], null, s8, v41, 0
	v_lshlrev_b64 v[38:39], 3, v[39:40]
	v_add_co_u32 v10, vcc_lo, v42, v10
	v_mad_u64_u32 v[16:17], null, s9, v54, v[16:17]
	v_add_co_ci_u32_e32 v11, vcc_lo, v43, v11, vcc_lo
	v_mov_b32_e32 v17, v37
	v_add_co_u32 v37, vcc_lo, v42, v38
	v_add_co_ci_u32_e32 v38, vcc_lo, v43, v39, vcc_lo
	v_mov_b32_e32 v58, v16
	v_mad_u64_u32 v[16:17], null, s9, v41, v[17:18]
	v_mad_u64_u32 v[39:40], null, s8, v44, 0
	v_and_b32_e32 v17, 0x1c0, v80
	global_store_dwordx2 v[10:11], v[22:23], off
	global_store_dwordx2 v[37:38], v[30:31], off
	v_lshlrev_b64 v[10:11], 3, v[57:58]
	v_mov_b32_e32 v37, v16
	v_add_nc_u32_e32 v38, v17, v77
	v_mov_b32_e32 v16, v40
	v_add_co_u32 v10, vcc_lo, v42, v10
	v_lshlrev_b64 v[22:23], 3, v[36:37]
	v_mad_u64_u32 v[16:17], null, s9, v44, v[16:17]
	v_mad_u64_u32 v[30:31], null, s8, v38, 0
	v_add_nc_u32_e32 v36, 16, v38
	v_add_co_ci_u32_e32 v11, vcc_lo, v43, v11, vcc_lo
	v_add_co_u32 v22, vcc_lo, v42, v22
	v_mov_b32_e32 v40, v16
	v_mad_u64_u32 v[16:17], null, s8, v36, 0
	v_add_co_ci_u32_e32 v23, vcc_lo, v43, v23, vcc_lo
	global_store_dwordx2 v[10:11], v[14:15], off
	v_mov_b32_e32 v10, v31
	v_lshlrev_b64 v[14:15], 3, v[39:40]
                                        ; kill: def $vgpr11 killed $sgpr0 killed $exec
	global_store_dwordx2 v[22:23], v[6:7], off
	v_add_nc_u32_e32 v37, 32, v38
                                        ; implicit-def: $vgpr44_vgpr45
	v_mad_u64_u32 v[6:7], null, s9, v38, v[10:11]
	v_mov_b32_e32 v7, v17
	v_add_co_u32 v10, vcc_lo, v42, v14
	v_add_co_ci_u32_e32 v11, vcc_lo, v43, v15, vcc_lo
	v_mad_u64_u32 v[14:15], null, s9, v36, v[7:8]
	v_mov_b32_e32 v31, v6
	v_add_nc_u32_e32 v36, 48, v38
	v_add_nc_u32_e32 v38, 64, v38
	v_mad_u64_u32 v[6:7], null, s8, v37, 0
	global_store_dwordx2 v[10:11], v[26:27], off
	v_mov_b32_e32 v17, v14
	v_lshlrev_b64 v[10:11], 3, v[30:31]
	v_mad_u64_u32 v[14:15], null, s8, v36, 0
	v_mad_u64_u32 v[22:23], null, s8, v38, 0
	v_lshlrev_b64 v[16:17], 3, v[16:17]
	v_add_co_u32 v10, vcc_lo, v42, v10
	v_mad_u64_u32 v[26:27], null, s9, v37, v[7:8]
	v_add_co_ci_u32_e32 v11, vcc_lo, v43, v11, vcc_lo
	v_mad_u64_u32 v[30:31], null, s9, v36, v[15:16]
	v_mov_b32_e32 v15, v23
	v_add_co_u32 v16, vcc_lo, v42, v16
	v_mov_b32_e32 v7, v26
	global_store_dwordx2 v[10:11], v[24:25], off
	v_add_co_ci_u32_e32 v17, vcc_lo, v43, v17, vcc_lo
	v_mad_u64_u32 v[26:27], null, s9, v38, v[15:16]
	v_mov_b32_e32 v15, v30
	v_lshlrev_b64 v[6:7], 3, v[6:7]
	global_store_dwordx2 v[16:17], v[28:29], off
	v_lshlrev_b64 v[10:11], 3, v[14:15]
	v_mov_b32_e32 v23, v26
	v_add_co_u32 v6, vcc_lo, v42, v6
	v_add_co_ci_u32_e32 v7, vcc_lo, v43, v7, vcc_lo
	v_lshlrev_b64 v[14:15], 3, v[22:23]
	v_add_co_u32 v10, vcc_lo, v42, v10
	v_add_co_ci_u32_e32 v11, vcc_lo, v43, v11, vcc_lo
	global_store_dwordx2 v[6:7], v[32:33], off
	global_store_dwordx2 v[10:11], v[8:9], off
	v_add_co_u32 v14, vcc_lo, v42, v14
	v_add_co_ci_u32_e32 v15, vcc_lo, v43, v15, vcc_lo
	global_store_dwordx2 v[14:15], v[34:35], off
	s_and_saveexec_b32 s2, s0
	s_cbranch_execz .LBB0_24
; %bb.23:
	v_mad_u64_u32 v[6:7], null, 0x78, s8, v[42:43]
	v_mad_u64_u32 v[8:9], null, 0xf8, s8, v[42:43]
	;; [unrolled: 1-line block ×6, first 2 shown]
	v_mov_b32_e32 v7, v9
	v_mov_b32_e32 v9, v11
	;; [unrolled: 1-line block ×3, first 2 shown]
	s_or_b32 s3, s16, exec_lo
	v_mov_b32_e32 v15, v45
	v_mad_u64_u32 v[22:23], null, 0xf8, s9, v[7:8]
	v_mov_b32_e32 v7, v16
	v_mad_u64_u32 v[16:17], null, 0x178, s9, v[9:10]
	v_mad_u64_u32 v[23:24], null, 0x1f8, s9, v[11:12]
	global_store_dwordx2 v[6:7], v[12:13], off
	v_mov_b32_e32 v9, v22
	v_mad_u64_u32 v[6:7], null, 0x278, s9, v[15:16]
	v_mov_b32_e32 v15, v23
	v_mov_b32_e32 v11, v16
	global_store_dwordx2 v[8:9], v[18:19], off
	global_store_dwordx2 v[10:11], v[20:21], off
	v_mov_b32_e32 v45, v6
	global_store_dwordx2 v[14:15], v[4:5], off
.LBB0_24:
	s_or_b32 exec_lo, exec_lo, s2
	s_andn2_b32 s0, s16, exec_lo
	s_and_b32 s2, s3, exec_lo
	s_or_b32 s16, s0, s2
.LBB0_25:
	s_or_b32 exec_lo, exec_lo, s1
.LBB0_26:
	s_and_saveexec_b32 s0, s16
	s_cbranch_execnz .LBB0_28
; %bb.27:
	s_endpgm
.LBB0_28:
	v_mul_f32_e32 v4, 0x3f737871, v48
	v_mul_f32_e32 v5, 0x3f737871, v49
	;; [unrolled: 1-line block ×5, first 2 shown]
	v_add_f32_e32 v4, v51, v4
	v_sub_f32_e32 v5, v50, v5
	v_mul_f32_e32 v9, 0x3e9e377a, v52
	s_waitcnt vmcnt(0)
	v_mul_f32_e32 v10, v0, v3
	v_mul_f32_e32 v3, v1, v3
	v_add_f32_e32 v4, v7, v4
	v_sub_f32_e32 v5, v5, v6
	v_fmac_f32_e32 v10, v1, v2
	v_fma_f32 v2, v0, v2, -v3
	v_add_f32_e32 v4, v9, v4
	v_add_f32_e32 v5, v8, v5
	v_mul_f32_e32 v0, v4, v10
	v_mul_f32_e32 v1, v5, v10
	v_fma_f32 v0, v5, v2, -v0
	v_fmac_f32_e32 v1, v4, v2
	global_store_dwordx2 v[44:45], v[0:1], off
	s_endpgm
	.section	.rodata,"a",@progbits
	.p2align	6, 0x0
	.amdhsa_kernel fft_rtc_fwd_len80_factors_2_2_4_5_wgs_125_tpt_5_dim3_sp_ip_CI_sbcc_twdbase8_2step_dirReg
		.amdhsa_group_segment_fixed_size 0
		.amdhsa_private_segment_fixed_size 0
		.amdhsa_kernarg_size 88
		.amdhsa_user_sgpr_count 6
		.amdhsa_user_sgpr_private_segment_buffer 1
		.amdhsa_user_sgpr_dispatch_ptr 0
		.amdhsa_user_sgpr_queue_ptr 0
		.amdhsa_user_sgpr_kernarg_segment_ptr 1
		.amdhsa_user_sgpr_dispatch_id 0
		.amdhsa_user_sgpr_flat_scratch_init 0
		.amdhsa_user_sgpr_private_segment_size 0
		.amdhsa_wavefront_size32 1
		.amdhsa_uses_dynamic_stack 0
		.amdhsa_system_sgpr_private_segment_wavefront_offset 0
		.amdhsa_system_sgpr_workgroup_id_x 1
		.amdhsa_system_sgpr_workgroup_id_y 0
		.amdhsa_system_sgpr_workgroup_id_z 0
		.amdhsa_system_sgpr_workgroup_info 0
		.amdhsa_system_vgpr_workitem_id 0
		.amdhsa_next_free_vgpr 135
		.amdhsa_next_free_sgpr 26
		.amdhsa_reserve_vcc 1
		.amdhsa_reserve_flat_scratch 0
		.amdhsa_float_round_mode_32 0
		.amdhsa_float_round_mode_16_64 0
		.amdhsa_float_denorm_mode_32 3
		.amdhsa_float_denorm_mode_16_64 3
		.amdhsa_dx10_clamp 1
		.amdhsa_ieee_mode 1
		.amdhsa_fp16_overflow 0
		.amdhsa_workgroup_processor_mode 1
		.amdhsa_memory_ordered 1
		.amdhsa_forward_progress 0
		.amdhsa_shared_vgpr_count 0
		.amdhsa_exception_fp_ieee_invalid_op 0
		.amdhsa_exception_fp_denorm_src 0
		.amdhsa_exception_fp_ieee_div_zero 0
		.amdhsa_exception_fp_ieee_overflow 0
		.amdhsa_exception_fp_ieee_underflow 0
		.amdhsa_exception_fp_ieee_inexact 0
		.amdhsa_exception_int_div_zero 0
	.end_amdhsa_kernel
	.text
.Lfunc_end0:
	.size	fft_rtc_fwd_len80_factors_2_2_4_5_wgs_125_tpt_5_dim3_sp_ip_CI_sbcc_twdbase8_2step_dirReg, .Lfunc_end0-fft_rtc_fwd_len80_factors_2_2_4_5_wgs_125_tpt_5_dim3_sp_ip_CI_sbcc_twdbase8_2step_dirReg
                                        ; -- End function
	.section	.AMDGPU.csdata,"",@progbits
; Kernel info:
; codeLenInByte = 11888
; NumSgprs: 28
; NumVgprs: 135
; ScratchSize: 0
; MemoryBound: 0
; FloatMode: 240
; IeeeMode: 1
; LDSByteSize: 0 bytes/workgroup (compile time only)
; SGPRBlocks: 3
; VGPRBlocks: 16
; NumSGPRsForWavesPerEU: 28
; NumVGPRsForWavesPerEU: 135
; Occupancy: 7
; WaveLimiterHint : 1
; COMPUTE_PGM_RSRC2:SCRATCH_EN: 0
; COMPUTE_PGM_RSRC2:USER_SGPR: 6
; COMPUTE_PGM_RSRC2:TRAP_HANDLER: 0
; COMPUTE_PGM_RSRC2:TGID_X_EN: 1
; COMPUTE_PGM_RSRC2:TGID_Y_EN: 0
; COMPUTE_PGM_RSRC2:TGID_Z_EN: 0
; COMPUTE_PGM_RSRC2:TIDIG_COMP_CNT: 0
	.text
	.p2alignl 6, 3214868480
	.fill 48, 4, 3214868480
	.type	__hip_cuid_af428e0feb8d9fc7,@object ; @__hip_cuid_af428e0feb8d9fc7
	.section	.bss,"aw",@nobits
	.globl	__hip_cuid_af428e0feb8d9fc7
__hip_cuid_af428e0feb8d9fc7:
	.byte	0                               ; 0x0
	.size	__hip_cuid_af428e0feb8d9fc7, 1

	.ident	"AMD clang version 19.0.0git (https://github.com/RadeonOpenCompute/llvm-project roc-6.4.0 25133 c7fe45cf4b819c5991fe208aaa96edf142730f1d)"
	.section	".note.GNU-stack","",@progbits
	.addrsig
	.addrsig_sym __hip_cuid_af428e0feb8d9fc7
	.amdgpu_metadata
---
amdhsa.kernels:
  - .args:
      - .actual_access:  read_only
        .address_space:  global
        .offset:         0
        .size:           8
        .value_kind:     global_buffer
      - .address_space:  global
        .offset:         8
        .size:           8
        .value_kind:     global_buffer
      - .actual_access:  read_only
        .address_space:  global
        .offset:         16
        .size:           8
        .value_kind:     global_buffer
      - .actual_access:  read_only
        .address_space:  global
        .offset:         24
        .size:           8
        .value_kind:     global_buffer
      - .offset:         32
        .size:           8
        .value_kind:     by_value
      - .actual_access:  read_only
        .address_space:  global
        .offset:         40
        .size:           8
        .value_kind:     global_buffer
      - .actual_access:  read_only
        .address_space:  global
        .offset:         48
        .size:           8
        .value_kind:     global_buffer
      - .offset:         56
        .size:           4
        .value_kind:     by_value
      - .actual_access:  read_only
        .address_space:  global
        .offset:         64
        .size:           8
        .value_kind:     global_buffer
      - .actual_access:  read_only
        .address_space:  global
        .offset:         72
        .size:           8
        .value_kind:     global_buffer
      - .address_space:  global
        .offset:         80
        .size:           8
        .value_kind:     global_buffer
    .group_segment_fixed_size: 0
    .kernarg_segment_align: 8
    .kernarg_segment_size: 88
    .language:       OpenCL C
    .language_version:
      - 2
      - 0
    .max_flat_workgroup_size: 125
    .name:           fft_rtc_fwd_len80_factors_2_2_4_5_wgs_125_tpt_5_dim3_sp_ip_CI_sbcc_twdbase8_2step_dirReg
    .private_segment_fixed_size: 0
    .sgpr_count:     28
    .sgpr_spill_count: 0
    .symbol:         fft_rtc_fwd_len80_factors_2_2_4_5_wgs_125_tpt_5_dim3_sp_ip_CI_sbcc_twdbase8_2step_dirReg.kd
    .uniform_work_group_size: 1
    .uses_dynamic_stack: false
    .vgpr_count:     135
    .vgpr_spill_count: 0
    .wavefront_size: 32
    .workgroup_processor_mode: 1
amdhsa.target:   amdgcn-amd-amdhsa--gfx1030
amdhsa.version:
  - 1
  - 2
...

	.end_amdgpu_metadata
